;; amdgpu-corpus repo=ggml-org/llama.cpp kind=compiled arch=gfx1030 opt=O3
	.amdgcn_target "amdgcn-amd-amdhsa--gfx1030"
	.amdhsa_code_object_version 6
	.section	.text._Z20gated_delta_net_cudaILi16ELb1ELb1EEvPKfS1_S1_S1_S1_S1_Pfllllllllllll15HIP_vector_typeIjLj3EES4_fi,"axG",@progbits,_Z20gated_delta_net_cudaILi16ELb1ELb1EEvPKfS1_S1_S1_S1_S1_Pfllllllllllll15HIP_vector_typeIjLj3EES4_fi,comdat
	.protected	_Z20gated_delta_net_cudaILi16ELb1ELb1EEvPKfS1_S1_S1_S1_S1_Pfllllllllllll15HIP_vector_typeIjLj3EES4_fi ; -- Begin function _Z20gated_delta_net_cudaILi16ELb1ELb1EEvPKfS1_S1_S1_S1_S1_Pfllllllllllll15HIP_vector_typeIjLj3EES4_fi
	.globl	_Z20gated_delta_net_cudaILi16ELb1ELb1EEvPKfS1_S1_S1_S1_S1_Pfllllllllllll15HIP_vector_typeIjLj3EES4_fi
	.p2align	8
	.type	_Z20gated_delta_net_cudaILi16ELb1ELb1EEvPKfS1_S1_S1_S1_S1_Pfllllllllllll15HIP_vector_typeIjLj3EES4_fi,@function
_Z20gated_delta_net_cudaILi16ELb1ELb1EEvPKfS1_S1_S1_S1_S1_Pfllllllllllll15HIP_vector_typeIjLj3EES4_fi: ; @_Z20gated_delta_net_cudaILi16ELb1ELb1EEvPKfS1_S1_S1_S1_S1_Pfllllllllllll15HIP_vector_typeIjLj3EES4_fi
; %bb.0:
	s_load_dwordx16 s[12:27], s[4:5], 0x40
	s_waitcnt lgkmcnt(0)
	v_cmp_lt_i64_e64 s0, s[12:13], 1
	s_and_b32 vcc_lo, exec_lo, s0
	s_cbranch_vccnz .LBB0_7
; %bb.1:
	s_clause 0x1
	s_load_dwordx16 s[36:51], s[4:5], 0x0
	s_load_dword s28, s[4:5], 0xc4
	s_mov_b32 s1, 0
	v_lshlrev_b32_e32 v16, 2, v0
	s_clause 0x1
	s_load_dwordx4 s[52:55], s[4:5], 0x98
	s_load_dword s33, s[4:5], 0xa8
	v_mov_b32_e32 v8, 0
	s_waitcnt lgkmcnt(0)
	s_mul_i32 s3, s51, s7
	s_mul_hi_u32 s10, s50, s7
	s_mul_i32 s0, s50, s15
	s_mul_hi_u32 s9, s50, s14
	s_mul_i32 s2, s50, s7
	s_add_i32 s3, s10, s3
	s_mul_i32 s15, s51, s14
	s_add_i32 s0, s9, s0
	s_lshl_b64 s[10:11], s[2:3], 10
	s_add_i32 s9, s0, s15
	s_add_u32 s10, s46, s10
	s_addc_u32 s11, s47, s11
	s_lshl_b32 s0, s6, 8
	s_lshl_b64 s[0:1], s[0:1], 2
	s_add_u32 s0, s10, s0
	s_addc_u32 s1, s11, s1
	s_lshr_b32 s10, s28, 16
	v_mad_u64_u32 v[1:2], null, s8, s10, v[1:2]
	s_mul_i32 s10, s3, s12
	s_mul_i32 s8, s50, s14
	v_lshlrev_b32_e32 v3, 4, v1
	v_ashrrev_i32_e32 v4, 31, v3
	v_lshlrev_b64 v[4:5], 2, v[3:4]
	v_add_nc_u32_e32 v3, v3, v0
	v_add_co_u32 v2, vcc_lo, s0, v4
	v_add_co_ci_u32_e64 v5, null, s1, v5, vcc_lo
	s_mul_i32 s0, s2, s13
	v_add_co_u32 v4, vcc_lo, v2, v16
	v_add_co_ci_u32_e64 v5, null, 0, v5, vcc_lo
	s_mul_hi_u32 s1, s2, s12
	s_add_i32 s0, s1, s0
	global_load_dword v7, v[4:5], off
	v_mbcnt_lo_u32_b32 v4, -1, 0
	s_mul_i32 s1, s2, s12
	s_add_i32 s10, s0, s10
	s_add_u32 s0, s1, s6
	s_addc_u32 s1, s10, 0
	v_and_b32_e32 v2, 16, v4
	s_lshl_b64 s[28:29], s[0:1], 6
	s_mul_i32 s0, s8, s13
	s_mul_hi_u32 s1, s8, s12
	s_add_u32 s10, s2, s6
	v_add_nc_u32_e32 v5, 16, v2
	v_xor_b32_e32 v2, 8, v4
	s_addc_u32 s11, s3, 0
	s_add_i32 s0, s1, s0
	s_mul_i32 s1, s9, s12
	v_xor_b32_e32 v6, 4, v4
	s_add_i32 s1, s0, s1
	s_mul_i32 s0, s8, s12
	v_cmp_lt_i32_e32 vcc_lo, v2, v5
	s_lshl_b64 s[14:15], s[0:1], 6
	s_clause 0x1
	s_load_dwordx4 s[0:3], s[4:5], 0x80
	s_load_dwordx2 s[30:31], s[4:5], 0x90
	s_add_u32 s34, s48, s14
	s_mul_hi_u32 s14, s55, s7
	v_cndmask_b32_e32 v9, v4, v2, vcc_lo
	v_xor_b32_e32 v10, 2, v4
	v_cmp_lt_i32_e32 vcc_lo, v6, v5
	s_addc_u32 s35, s49, s15
	s_add_i32 s14, s7, s14
	s_mul_hi_u32 s15, s52, s6
	s_lshr_b32 s33, s14, s33
	s_add_i32 s14, s6, s15
	s_mul_i32 s15, s27, s7
	s_mul_hi_u32 s27, s26, s7
	s_lshr_b32 s46, s14, s53
	v_xor_b32_e32 v11, 1, v4
	v_cndmask_b32_e32 v12, v4, v6, vcc_lo
	v_cmp_lt_i32_e32 vcc_lo, v10, v5
	s_add_i32 s15, s27, s15
	s_mul_i32 s14, s26, s7
	s_mul_i32 s46, s46, s54
	s_lshl_b64 s[14:15], s[14:15], 2
	s_sub_i32 s26, s6, s46
	v_ashrrev_i32_e32 v2, 31, v1
	s_add_u32 s27, s40, s14
	s_mul_i32 s14, s23, s6
	s_mul_hi_u32 s23, s22, s6
	v_cndmask_b32_e32 v13, v4, v10, vcc_lo
	v_cmp_lt_i32_e32 vcc_lo, v11, v5
	s_addc_u32 s40, s41, s15
	s_add_i32 s15, s23, s14
	s_mul_i32 s14, s22, s6
	v_lshlrev_b64 v[5:6], 2, v[1:2]
	s_lshl_b64 s[14:15], s[14:15], 2
	s_waitcnt lgkmcnt(0)
	s_mul_i32 s22, s31, s7
	s_mul_hi_u32 s23, s30, s7
	v_cndmask_b32_e32 v4, v4, v11, vcc_lo
	s_add_u32 s14, s27, s14
	s_addc_u32 s15, s40, s15
	s_add_i32 s23, s23, s22
	s_mul_i32 s1, s1, s6
	s_mul_hi_u32 s22, s0, s6
	s_mul_i32 s27, s30, s7
	s_mul_i32 s30, s0, s6
	s_lshl_b64 s[6:7], s[8:9], 8
	s_lshl_b64 s[8:9], s[10:11], 10
	s_add_i32 s22, s22, s1
	v_lshlrev_b32_e32 v10, 2, v12
	v_lshlrev_b32_e32 v12, 2, v4
	v_add_co_u32 v1, vcc_lo, s14, v5
	v_ashrrev_i32_e32 v4, 31, v3
	s_add_u32 s14, s34, s8
	s_mul_i32 s1, s21, s33
	s_mul_hi_u32 s8, s20, s33
	v_add_co_ci_u32_e64 v2, null, s15, v6, vcc_lo
	s_addc_u32 s15, s35, s9
	s_add_i32 s9, s8, s1
	s_mul_i32 s1, s17, s26
	s_mul_hi_u32 s10, s16, s26
	s_mul_i32 s8, s20, s33
	s_add_i32 s11, s10, s1
	s_mul_i32 s10, s16, s26
	v_lshlrev_b64 v[3:4], 2, v[3:4]
	s_lshl_b64 s[8:9], s[8:9], 2
	s_lshl_b64 s[10:11], s[10:11], 2
	s_add_i32 s1, s12, -1
	s_add_u32 s20, s8, s10
	s_addc_u32 s21, s9, s11
	s_lshl_b64 s[8:9], s[18:19], 2
	s_lshl_b64 s[10:11], s[24:25], 2
	s_add_u32 s16, s27, s30
	s_load_dwordx2 s[4:5], s[4:5], 0xb0
	v_cmp_eq_u32_e64 s0, 0, v0
	s_addc_u32 s17, s23, s22
	v_add_co_u32 v0, vcc_lo, s14, v3
	v_lshlrev_b32_e32 v11, 2, v13
	v_add_co_ci_u32_e64 v13, null, s15, v4, vcc_lo
	s_lshl_b64 s[14:15], s[16:17], 2
	v_add_co_u32 v14, s18, s20, v16
	s_add_u32 s14, s44, s14
	v_add_co_ci_u32_e64 v15, null, s21, 0, s18
	s_addc_u32 s15, s45, s15
	s_lshl_b64 s[18:19], s[16:17], 6
	s_lshl_b64 s[16:17], s[2:3], 2
	s_add_u32 s18, s42, s18
	s_addc_u32 s19, s43, s19
	v_add_co_u32 v3, s18, s18, v16
	s_lshl_b64 s[2:3], s[2:3], 6
	v_add_co_ci_u32_e64 v4, null, s19, 0, s18
	s_add_u32 s18, s48, s28
	s_addc_u32 s19, s49, s29
	v_add_co_u32 v5, vcc_lo, s18, v5
	v_lshlrev_b32_e32 v9, 2, v9
	v_add_co_ci_u32_e64 v6, null, s19, v6, vcc_lo
	s_lshl_b64 s[18:19], s[50:51], 6
	s_mov_b64 s[20:21], 0
	s_branch .LBB0_3
.LBB0_2:                                ;   in Loop: Header=BB0_3 Depth=1
	v_add_co_u32 v14, vcc_lo, v14, s8
	s_add_u32 s20, s20, 1
	v_add_co_ci_u32_e64 v15, null, s9, v15, vcc_lo
	v_add_co_u32 v1, vcc_lo, v1, s10
	s_addc_u32 s21, s21, 0
	v_add_co_ci_u32_e64 v2, null, s11, v2, vcc_lo
	v_add_co_u32 v3, vcc_lo, v3, s2
	v_cmp_le_i64_e64 s22, s[12:13], s[20:21]
	v_add_co_ci_u32_e64 v4, null, s3, v4, vcc_lo
	v_add_co_u32 v5, vcc_lo, v5, s18
	v_add_co_ci_u32_e64 v6, null, s19, v6, vcc_lo
	s_add_i32 s1, s1, -1
	s_add_u32 s14, s14, s16
	s_addc_u32 s15, s15, s17
	s_and_b32 vcc_lo, exec_lo, s22
	s_cbranch_vccnz .LBB0_7
.LBB0_3:                                ; =>This Inner Loop Header: Depth=1
	global_load_dword v18, v[3:4], off
	v_add_co_u32 v16, vcc_lo, s38, v14
	s_waitcnt lgkmcnt(0)
	v_add_co_ci_u32_e64 v17, null, s39, v15, vcc_lo
	global_load_dword v19, v[16:17], off
	global_load_dword v20, v[1:2], off
	global_load_dword v21, v8, s[14:15]
	v_add_co_u32 v16, vcc_lo, s36, v14
	v_add_co_ci_u32_e64 v17, null, s37, v15, vcc_lo
	global_load_dword v16, v[16:17], off
	s_waitcnt vmcnt(4)
	v_mul_f32_e32 v17, 0x3fb8aa3b, v18
	v_cmp_ngt_f32_e32 vcc_lo, 0xc2ce8ed0, v18
	v_rndne_f32_e32 v22, v17
	v_fma_f32 v23, 0x3fb8aa3b, v18, -v17
	v_sub_f32_e32 v17, v17, v22
	v_fmac_f32_e32 v23, 0x32a5705f, v18
	v_cvt_i32_f32_e32 v22, v22
	v_add_f32_e32 v17, v17, v23
	v_exp_f32_e32 v17, v17
	v_ldexp_f32 v17, v17, v22
	v_cndmask_b32_e32 v17, 0, v17, vcc_lo
	v_cmp_nlt_f32_e32 vcc_lo, 0x42b17218, v18
	v_cndmask_b32_e32 v17, 0x7f800000, v17, vcc_lo
	v_mul_f32_e32 v7, v7, v17
	s_waitcnt vmcnt(3)
	v_fma_f32 v17, v19, v7, 0
	ds_bpermute_b32 v18, v9, v17
	s_waitcnt lgkmcnt(0)
	v_add_f32_e32 v17, v17, v18
	ds_bpermute_b32 v18, v10, v17
	s_waitcnt lgkmcnt(0)
	v_add_f32_e32 v17, v17, v18
	;; [unrolled: 3-line block ×4, first 2 shown]
	s_waitcnt vmcnt(2)
	v_sub_f32_e32 v17, v20, v17
	s_waitcnt vmcnt(1)
	v_mul_f32_e32 v17, v21, v17
	v_fmac_f32_e32 v7, v19, v17
	s_waitcnt vmcnt(0)
	v_fma_f32 v16, v16, v7, 0
	ds_bpermute_b32 v17, v9, v16
	s_waitcnt lgkmcnt(0)
	v_add_f32_e32 v16, v16, v17
	ds_bpermute_b32 v17, v10, v16
	s_waitcnt lgkmcnt(0)
	v_add_f32_e32 v16, v16, v17
	;; [unrolled: 3-line block ×3, first 2 shown]
	ds_bpermute_b32 v17, v12, v16
	s_and_saveexec_b32 s22, s0
	s_cbranch_execz .LBB0_5
; %bb.4:                                ;   in Loop: Header=BB0_3 Depth=1
	s_waitcnt lgkmcnt(0)
	v_add_f32_e32 v16, v16, v17
	v_mul_f32_e32 v16, s4, v16
	global_store_dword v[5:6], v16, off
.LBB0_5:                                ;   in Loop: Header=BB0_3 Depth=1
	s_or_b32 exec_lo, exec_lo, s22
	s_cmp_lt_i32 s1, 0
	s_cselect_b32 s22, -1, 0
	s_cmp_ge_i32 s1, s5
	s_cselect_b32 s23, -1, 0
	s_or_b32 s22, s22, s23
	s_and_b32 vcc_lo, exec_lo, s22
	s_cbranch_vccnz .LBB0_2
; %bb.6:                                ;   in Loop: Header=BB0_3 Depth=1
	s_mul_i32 s23, s7, s1
	s_mul_hi_u32 s24, s6, s1
	s_mul_i32 s22, s6, s1
	s_add_i32 s23, s24, s23
	s_lshl_b64 s[22:23], s[22:23], 2
	v_add_co_u32 v16, vcc_lo, v0, s22
	s_waitcnt lgkmcnt(0)
	v_add_co_ci_u32_e64 v17, null, s23, v13, vcc_lo
	global_store_dword v[16:17], v7, off
	s_branch .LBB0_2
.LBB0_7:
	s_endpgm
	.section	.rodata,"a",@progbits
	.p2align	6, 0x0
	.amdhsa_kernel _Z20gated_delta_net_cudaILi16ELb1ELb1EEvPKfS1_S1_S1_S1_S1_Pfllllllllllll15HIP_vector_typeIjLj3EES4_fi
		.amdhsa_group_segment_fixed_size 0
		.amdhsa_private_segment_fixed_size 0
		.amdhsa_kernarg_size 440
		.amdhsa_user_sgpr_count 6
		.amdhsa_user_sgpr_private_segment_buffer 1
		.amdhsa_user_sgpr_dispatch_ptr 0
		.amdhsa_user_sgpr_queue_ptr 0
		.amdhsa_user_sgpr_kernarg_segment_ptr 1
		.amdhsa_user_sgpr_dispatch_id 0
		.amdhsa_user_sgpr_flat_scratch_init 0
		.amdhsa_user_sgpr_private_segment_size 0
		.amdhsa_wavefront_size32 1
		.amdhsa_uses_dynamic_stack 0
		.amdhsa_system_sgpr_private_segment_wavefront_offset 0
		.amdhsa_system_sgpr_workgroup_id_x 1
		.amdhsa_system_sgpr_workgroup_id_y 1
		.amdhsa_system_sgpr_workgroup_id_z 1
		.amdhsa_system_sgpr_workgroup_info 0
		.amdhsa_system_vgpr_workitem_id 1
		.amdhsa_next_free_vgpr 24
		.amdhsa_next_free_sgpr 56
		.amdhsa_reserve_vcc 1
		.amdhsa_reserve_flat_scratch 0
		.amdhsa_float_round_mode_32 0
		.amdhsa_float_round_mode_16_64 0
		.amdhsa_float_denorm_mode_32 3
		.amdhsa_float_denorm_mode_16_64 3
		.amdhsa_dx10_clamp 1
		.amdhsa_ieee_mode 1
		.amdhsa_fp16_overflow 0
		.amdhsa_workgroup_processor_mode 1
		.amdhsa_memory_ordered 1
		.amdhsa_forward_progress 1
		.amdhsa_shared_vgpr_count 0
		.amdhsa_exception_fp_ieee_invalid_op 0
		.amdhsa_exception_fp_denorm_src 0
		.amdhsa_exception_fp_ieee_div_zero 0
		.amdhsa_exception_fp_ieee_overflow 0
		.amdhsa_exception_fp_ieee_underflow 0
		.amdhsa_exception_fp_ieee_inexact 0
		.amdhsa_exception_int_div_zero 0
	.end_amdhsa_kernel
	.section	.text._Z20gated_delta_net_cudaILi16ELb1ELb1EEvPKfS1_S1_S1_S1_S1_Pfllllllllllll15HIP_vector_typeIjLj3EES4_fi,"axG",@progbits,_Z20gated_delta_net_cudaILi16ELb1ELb1EEvPKfS1_S1_S1_S1_S1_Pfllllllllllll15HIP_vector_typeIjLj3EES4_fi,comdat
.Lfunc_end0:
	.size	_Z20gated_delta_net_cudaILi16ELb1ELb1EEvPKfS1_S1_S1_S1_S1_Pfllllllllllll15HIP_vector_typeIjLj3EES4_fi, .Lfunc_end0-_Z20gated_delta_net_cudaILi16ELb1ELb1EEvPKfS1_S1_S1_S1_S1_Pfllllllllllll15HIP_vector_typeIjLj3EES4_fi
                                        ; -- End function
	.set _Z20gated_delta_net_cudaILi16ELb1ELb1EEvPKfS1_S1_S1_S1_S1_Pfllllllllllll15HIP_vector_typeIjLj3EES4_fi.num_vgpr, 24
	.set _Z20gated_delta_net_cudaILi16ELb1ELb1EEvPKfS1_S1_S1_S1_S1_Pfllllllllllll15HIP_vector_typeIjLj3EES4_fi.num_agpr, 0
	.set _Z20gated_delta_net_cudaILi16ELb1ELb1EEvPKfS1_S1_S1_S1_S1_Pfllllllllllll15HIP_vector_typeIjLj3EES4_fi.numbered_sgpr, 56
	.set _Z20gated_delta_net_cudaILi16ELb1ELb1EEvPKfS1_S1_S1_S1_S1_Pfllllllllllll15HIP_vector_typeIjLj3EES4_fi.num_named_barrier, 0
	.set _Z20gated_delta_net_cudaILi16ELb1ELb1EEvPKfS1_S1_S1_S1_S1_Pfllllllllllll15HIP_vector_typeIjLj3EES4_fi.private_seg_size, 0
	.set _Z20gated_delta_net_cudaILi16ELb1ELb1EEvPKfS1_S1_S1_S1_S1_Pfllllllllllll15HIP_vector_typeIjLj3EES4_fi.uses_vcc, 1
	.set _Z20gated_delta_net_cudaILi16ELb1ELb1EEvPKfS1_S1_S1_S1_S1_Pfllllllllllll15HIP_vector_typeIjLj3EES4_fi.uses_flat_scratch, 0
	.set _Z20gated_delta_net_cudaILi16ELb1ELb1EEvPKfS1_S1_S1_S1_S1_Pfllllllllllll15HIP_vector_typeIjLj3EES4_fi.has_dyn_sized_stack, 0
	.set _Z20gated_delta_net_cudaILi16ELb1ELb1EEvPKfS1_S1_S1_S1_S1_Pfllllllllllll15HIP_vector_typeIjLj3EES4_fi.has_recursion, 0
	.set _Z20gated_delta_net_cudaILi16ELb1ELb1EEvPKfS1_S1_S1_S1_S1_Pfllllllllllll15HIP_vector_typeIjLj3EES4_fi.has_indirect_call, 0
	.section	.AMDGPU.csdata,"",@progbits
; Kernel info:
; codeLenInByte = 1332
; TotalNumSgprs: 58
; NumVgprs: 24
; ScratchSize: 0
; MemoryBound: 0
; FloatMode: 240
; IeeeMode: 1
; LDSByteSize: 0 bytes/workgroup (compile time only)
; SGPRBlocks: 0
; VGPRBlocks: 2
; NumSGPRsForWavesPerEU: 58
; NumVGPRsForWavesPerEU: 24
; Occupancy: 16
; WaveLimiterHint : 1
; COMPUTE_PGM_RSRC2:SCRATCH_EN: 0
; COMPUTE_PGM_RSRC2:USER_SGPR: 6
; COMPUTE_PGM_RSRC2:TRAP_HANDLER: 0
; COMPUTE_PGM_RSRC2:TGID_X_EN: 1
; COMPUTE_PGM_RSRC2:TGID_Y_EN: 1
; COMPUTE_PGM_RSRC2:TGID_Z_EN: 1
; COMPUTE_PGM_RSRC2:TIDIG_COMP_CNT: 1
	.section	.text._Z20gated_delta_net_cudaILi32ELb1ELb1EEvPKfS1_S1_S1_S1_S1_Pfllllllllllll15HIP_vector_typeIjLj3EES4_fi,"axG",@progbits,_Z20gated_delta_net_cudaILi32ELb1ELb1EEvPKfS1_S1_S1_S1_S1_Pfllllllllllll15HIP_vector_typeIjLj3EES4_fi,comdat
	.protected	_Z20gated_delta_net_cudaILi32ELb1ELb1EEvPKfS1_S1_S1_S1_S1_Pfllllllllllll15HIP_vector_typeIjLj3EES4_fi ; -- Begin function _Z20gated_delta_net_cudaILi32ELb1ELb1EEvPKfS1_S1_S1_S1_S1_Pfllllllllllll15HIP_vector_typeIjLj3EES4_fi
	.globl	_Z20gated_delta_net_cudaILi32ELb1ELb1EEvPKfS1_S1_S1_S1_S1_Pfllllllllllll15HIP_vector_typeIjLj3EES4_fi
	.p2align	8
	.type	_Z20gated_delta_net_cudaILi32ELb1ELb1EEvPKfS1_S1_S1_S1_S1_Pfllllllllllll15HIP_vector_typeIjLj3EES4_fi,@function
_Z20gated_delta_net_cudaILi32ELb1ELb1EEvPKfS1_S1_S1_S1_S1_Pfllllllllllll15HIP_vector_typeIjLj3EES4_fi: ; @_Z20gated_delta_net_cudaILi32ELb1ELb1EEvPKfS1_S1_S1_S1_S1_Pfllllllllllll15HIP_vector_typeIjLj3EES4_fi
; %bb.0:
	s_load_dwordx16 s[12:27], s[4:5], 0x40
	s_waitcnt lgkmcnt(0)
	v_cmp_lt_i64_e64 s0, s[12:13], 1
	s_and_b32 vcc_lo, exec_lo, s0
	s_cbranch_vccnz .LBB1_7
; %bb.1:
	s_clause 0x1
	s_load_dwordx16 s[36:51], s[4:5], 0x0
	s_load_dword s28, s[4:5], 0xc4
	s_mov_b32 s1, 0
	v_lshlrev_b32_e32 v17, 2, v0
	s_clause 0x1
	s_load_dwordx4 s[52:55], s[4:5], 0x98
	s_load_dword s33, s[4:5], 0xa8
	v_mov_b32_e32 v8, 0
	s_waitcnt lgkmcnt(0)
	s_mul_i32 s3, s51, s7
	s_mul_hi_u32 s10, s50, s7
	s_mul_i32 s0, s50, s15
	s_mul_hi_u32 s9, s50, s14
	s_mul_i32 s2, s50, s7
	s_add_i32 s3, s10, s3
	s_mul_i32 s15, s51, s14
	s_add_i32 s0, s9, s0
	s_lshl_b64 s[10:11], s[2:3], 12
	s_add_i32 s9, s0, s15
	s_add_u32 s10, s46, s10
	s_addc_u32 s11, s47, s11
	s_lshl_b32 s0, s6, 10
	s_lshl_b64 s[0:1], s[0:1], 2
	s_add_u32 s0, s10, s0
	s_addc_u32 s1, s11, s1
	s_lshr_b32 s10, s28, 16
	v_mad_u64_u32 v[1:2], null, s8, s10, v[1:2]
	s_mul_i32 s10, s3, s12
	s_mul_i32 s8, s50, s14
	v_lshlrev_b32_e32 v3, 5, v1
	v_ashrrev_i32_e32 v4, 31, v3
	v_lshlrev_b64 v[4:5], 2, v[3:4]
	v_add_nc_u32_e32 v3, v3, v0
	v_add_co_u32 v2, vcc_lo, s0, v4
	v_add_co_ci_u32_e64 v5, null, s1, v5, vcc_lo
	s_mul_i32 s0, s2, s13
	v_add_co_u32 v4, vcc_lo, v2, v17
	v_add_co_ci_u32_e64 v5, null, 0, v5, vcc_lo
	s_mul_hi_u32 s1, s2, s12
	s_add_i32 s0, s1, s0
	global_load_dword v7, v[4:5], off
	v_mbcnt_lo_u32_b32 v4, -1, 0
	s_mul_i32 s1, s2, s12
	s_add_i32 s10, s0, s10
	s_add_u32 s0, s1, s6
	s_addc_u32 s1, s10, 0
	v_xor_b32_e32 v2, 16, v4
	s_lshl_b64 s[28:29], s[0:1], 7
	s_mul_i32 s0, s8, s13
	s_mul_hi_u32 s1, s8, s12
	s_add_u32 s10, s2, s6
	v_cmp_gt_i32_e32 vcc_lo, 32, v2
	v_xor_b32_e32 v5, 8, v4
	s_addc_u32 s11, s3, 0
	s_add_i32 s0, s1, s0
	s_mul_i32 s1, s9, s12
	v_cndmask_b32_e32 v2, v4, v2, vcc_lo
	s_add_i32 s1, s0, s1
	s_mul_i32 s0, s8, s12
	v_cmp_gt_i32_e32 vcc_lo, 32, v5
	s_lshl_b64 s[14:15], s[0:1], 7
	s_clause 0x1
	s_load_dwordx4 s[0:3], s[4:5], 0x80
	s_load_dwordx2 s[30:31], s[4:5], 0x90
	v_lshlrev_b32_e32 v9, 2, v2
	v_xor_b32_e32 v2, 4, v4
	s_add_u32 s34, s48, s14
	s_mul_hi_u32 s14, s55, s7
	v_cndmask_b32_e32 v5, v4, v5, vcc_lo
	v_xor_b32_e32 v6, 2, v4
	v_cmp_gt_i32_e32 vcc_lo, 32, v2
	s_addc_u32 s35, s49, s15
	s_add_i32 s14, s7, s14
	s_mul_hi_u32 s15, s52, s6
	s_lshr_b32 s33, s14, s33
	s_add_i32 s14, s6, s15
	s_mul_i32 s15, s27, s7
	s_mul_hi_u32 s27, s26, s7
	s_lshr_b32 s46, s14, s53
	v_xor_b32_e32 v10, 1, v4
	v_cndmask_b32_e32 v11, v4, v2, vcc_lo
	v_cmp_gt_i32_e32 vcc_lo, 32, v6
	s_add_i32 s15, s27, s15
	s_mul_i32 s14, s26, s7
	s_mul_i32 s46, s46, s54
	s_lshl_b64 s[14:15], s[14:15], 2
	s_sub_i32 s26, s6, s46
	s_add_u32 s27, s40, s14
	s_mul_i32 s14, s23, s6
	s_mul_hi_u32 s23, s22, s6
	v_ashrrev_i32_e32 v2, 31, v1
	v_cndmask_b32_e32 v12, v4, v6, vcc_lo
	v_cmp_gt_i32_e32 vcc_lo, 32, v10
	s_addc_u32 s40, s41, s15
	s_add_i32 s15, s23, s14
	s_mul_i32 s14, s22, s6
	s_waitcnt lgkmcnt(0)
	s_mul_i32 s22, s31, s7
	s_lshl_b64 s[14:15], s[14:15], 2
	s_mul_hi_u32 s23, s30, s7
	v_cndmask_b32_e32 v4, v4, v10, vcc_lo
	v_lshlrev_b32_e32 v10, 2, v5
	v_lshlrev_b64 v[5:6], 2, v[1:2]
	s_add_u32 s14, s27, s14
	s_addc_u32 s15, s40, s15
	s_add_i32 s23, s23, s22
	s_mul_i32 s22, s30, s7
	s_mul_i32 s1, s1, s6
	s_mul_hi_u32 s7, s0, s6
	s_mul_i32 s30, s0, s6
	s_add_i32 s27, s7, s1
	s_lshl_b64 s[6:7], s[8:9], 10
	s_lshl_b64 s[8:9], s[10:11], 12
	v_lshlrev_b32_e32 v13, 2, v4
	v_add_co_u32 v1, vcc_lo, s14, v5
	v_ashrrev_i32_e32 v4, 31, v3
	s_add_u32 s14, s34, s8
	s_mul_i32 s1, s21, s33
	s_mul_hi_u32 s8, s20, s33
	v_add_co_ci_u32_e64 v2, null, s15, v6, vcc_lo
	s_addc_u32 s15, s35, s9
	s_add_i32 s9, s8, s1
	s_mul_i32 s1, s17, s26
	s_mul_hi_u32 s10, s16, s26
	s_mul_i32 s8, s20, s33
	s_add_i32 s11, s10, s1
	s_mul_i32 s10, s16, s26
	v_lshlrev_b64 v[3:4], 2, v[3:4]
	s_lshl_b64 s[8:9], s[8:9], 2
	s_lshl_b64 s[10:11], s[10:11], 2
	s_add_i32 s1, s12, -1
	s_add_u32 s20, s8, s10
	s_addc_u32 s21, s9, s11
	s_lshl_b64 s[8:9], s[18:19], 2
	s_lshl_b64 s[10:11], s[24:25], 2
	s_add_u32 s16, s22, s30
	s_load_dwordx2 s[4:5], s[4:5], 0xb0
	v_cmp_eq_u32_e64 s0, 0, v0
	s_addc_u32 s17, s23, s27
	v_add_co_u32 v0, vcc_lo, s14, v3
	v_add_co_ci_u32_e64 v14, null, s15, v4, vcc_lo
	s_lshl_b64 s[14:15], s[16:17], 2
	v_add_co_u32 v15, s18, s20, v17
	s_add_u32 s14, s44, s14
	v_add_co_ci_u32_e64 v16, null, s21, 0, s18
	s_addc_u32 s15, s45, s15
	s_lshl_b64 s[18:19], s[16:17], 7
	s_lshl_b64 s[16:17], s[2:3], 2
	s_add_u32 s18, s42, s18
	s_addc_u32 s19, s43, s19
	v_add_co_u32 v3, s18, s18, v17
	s_lshl_b64 s[2:3], s[2:3], 7
	v_add_co_ci_u32_e64 v4, null, s19, 0, s18
	s_add_u32 s18, s48, s28
	s_addc_u32 s19, s49, s29
	v_add_co_u32 v5, vcc_lo, s18, v5
	v_lshlrev_b32_e32 v11, 2, v11
	v_lshlrev_b32_e32 v12, 2, v12
	v_add_co_ci_u32_e64 v6, null, s19, v6, vcc_lo
	s_lshl_b64 s[18:19], s[50:51], 7
	s_mov_b64 s[20:21], 0
	s_branch .LBB1_3
.LBB1_2:                                ;   in Loop: Header=BB1_3 Depth=1
	v_add_co_u32 v15, vcc_lo, v15, s8
	s_add_u32 s20, s20, 1
	v_add_co_ci_u32_e64 v16, null, s9, v16, vcc_lo
	v_add_co_u32 v1, vcc_lo, v1, s10
	s_addc_u32 s21, s21, 0
	v_add_co_ci_u32_e64 v2, null, s11, v2, vcc_lo
	v_add_co_u32 v3, vcc_lo, v3, s2
	v_cmp_le_i64_e64 s22, s[12:13], s[20:21]
	v_add_co_ci_u32_e64 v4, null, s3, v4, vcc_lo
	v_add_co_u32 v5, vcc_lo, v5, s18
	v_add_co_ci_u32_e64 v6, null, s19, v6, vcc_lo
	s_add_i32 s1, s1, -1
	s_add_u32 s14, s14, s16
	s_addc_u32 s15, s15, s17
	s_and_b32 vcc_lo, exec_lo, s22
	s_cbranch_vccnz .LBB1_7
.LBB1_3:                                ; =>This Inner Loop Header: Depth=1
	global_load_dword v19, v[3:4], off
	v_add_co_u32 v17, vcc_lo, s38, v15
	s_waitcnt lgkmcnt(0)
	v_add_co_ci_u32_e64 v18, null, s39, v16, vcc_lo
	global_load_dword v20, v[17:18], off
	global_load_dword v21, v[1:2], off
	global_load_dword v22, v8, s[14:15]
	v_add_co_u32 v17, vcc_lo, s36, v15
	v_add_co_ci_u32_e64 v18, null, s37, v16, vcc_lo
	global_load_dword v17, v[17:18], off
	s_waitcnt vmcnt(4)
	v_mul_f32_e32 v18, 0x3fb8aa3b, v19
	v_cmp_ngt_f32_e32 vcc_lo, 0xc2ce8ed0, v19
	v_rndne_f32_e32 v23, v18
	v_fma_f32 v24, 0x3fb8aa3b, v19, -v18
	v_sub_f32_e32 v18, v18, v23
	v_fmac_f32_e32 v24, 0x32a5705f, v19
	v_cvt_i32_f32_e32 v23, v23
	v_add_f32_e32 v18, v18, v24
	v_exp_f32_e32 v18, v18
	v_ldexp_f32 v18, v18, v23
	v_cndmask_b32_e32 v18, 0, v18, vcc_lo
	v_cmp_nlt_f32_e32 vcc_lo, 0x42b17218, v19
	v_cndmask_b32_e32 v18, 0x7f800000, v18, vcc_lo
	v_mul_f32_e32 v7, v7, v18
	s_waitcnt vmcnt(3)
	v_fma_f32 v18, v20, v7, 0
	ds_bpermute_b32 v19, v9, v18
	s_waitcnt lgkmcnt(0)
	v_add_f32_e32 v18, v18, v19
	ds_bpermute_b32 v19, v10, v18
	s_waitcnt lgkmcnt(0)
	v_add_f32_e32 v18, v18, v19
	;; [unrolled: 3-line block ×5, first 2 shown]
	s_waitcnt vmcnt(2)
	v_sub_f32_e32 v18, v21, v18
	s_waitcnt vmcnt(1)
	v_mul_f32_e32 v18, v22, v18
	v_fmac_f32_e32 v7, v20, v18
	s_waitcnt vmcnt(0)
	v_fma_f32 v17, v17, v7, 0
	ds_bpermute_b32 v18, v9, v17
	s_waitcnt lgkmcnt(0)
	v_add_f32_e32 v17, v17, v18
	ds_bpermute_b32 v18, v10, v17
	s_waitcnt lgkmcnt(0)
	v_add_f32_e32 v17, v17, v18
	;; [unrolled: 3-line block ×4, first 2 shown]
	ds_bpermute_b32 v18, v13, v17
	s_and_saveexec_b32 s22, s0
	s_cbranch_execz .LBB1_5
; %bb.4:                                ;   in Loop: Header=BB1_3 Depth=1
	s_waitcnt lgkmcnt(0)
	v_add_f32_e32 v17, v17, v18
	v_mul_f32_e32 v17, s4, v17
	global_store_dword v[5:6], v17, off
.LBB1_5:                                ;   in Loop: Header=BB1_3 Depth=1
	s_or_b32 exec_lo, exec_lo, s22
	s_cmp_lt_i32 s1, 0
	s_cselect_b32 s22, -1, 0
	s_cmp_ge_i32 s1, s5
	s_cselect_b32 s23, -1, 0
	s_or_b32 s22, s22, s23
	s_and_b32 vcc_lo, exec_lo, s22
	s_cbranch_vccnz .LBB1_2
; %bb.6:                                ;   in Loop: Header=BB1_3 Depth=1
	s_mul_i32 s23, s7, s1
	s_mul_hi_u32 s24, s6, s1
	s_mul_i32 s22, s6, s1
	s_add_i32 s23, s24, s23
	s_lshl_b64 s[22:23], s[22:23], 2
	v_add_co_u32 v17, vcc_lo, v0, s22
	s_waitcnt lgkmcnt(0)
	v_add_co_ci_u32_e64 v18, null, s23, v14, vcc_lo
	global_store_dword v[17:18], v7, off
	s_branch .LBB1_2
.LBB1_7:
	s_endpgm
	.section	.rodata,"a",@progbits
	.p2align	6, 0x0
	.amdhsa_kernel _Z20gated_delta_net_cudaILi32ELb1ELb1EEvPKfS1_S1_S1_S1_S1_Pfllllllllllll15HIP_vector_typeIjLj3EES4_fi
		.amdhsa_group_segment_fixed_size 0
		.amdhsa_private_segment_fixed_size 0
		.amdhsa_kernarg_size 440
		.amdhsa_user_sgpr_count 6
		.amdhsa_user_sgpr_private_segment_buffer 1
		.amdhsa_user_sgpr_dispatch_ptr 0
		.amdhsa_user_sgpr_queue_ptr 0
		.amdhsa_user_sgpr_kernarg_segment_ptr 1
		.amdhsa_user_sgpr_dispatch_id 0
		.amdhsa_user_sgpr_flat_scratch_init 0
		.amdhsa_user_sgpr_private_segment_size 0
		.amdhsa_wavefront_size32 1
		.amdhsa_uses_dynamic_stack 0
		.amdhsa_system_sgpr_private_segment_wavefront_offset 0
		.amdhsa_system_sgpr_workgroup_id_x 1
		.amdhsa_system_sgpr_workgroup_id_y 1
		.amdhsa_system_sgpr_workgroup_id_z 1
		.amdhsa_system_sgpr_workgroup_info 0
		.amdhsa_system_vgpr_workitem_id 1
		.amdhsa_next_free_vgpr 25
		.amdhsa_next_free_sgpr 56
		.amdhsa_reserve_vcc 1
		.amdhsa_reserve_flat_scratch 0
		.amdhsa_float_round_mode_32 0
		.amdhsa_float_round_mode_16_64 0
		.amdhsa_float_denorm_mode_32 3
		.amdhsa_float_denorm_mode_16_64 3
		.amdhsa_dx10_clamp 1
		.amdhsa_ieee_mode 1
		.amdhsa_fp16_overflow 0
		.amdhsa_workgroup_processor_mode 1
		.amdhsa_memory_ordered 1
		.amdhsa_forward_progress 1
		.amdhsa_shared_vgpr_count 0
		.amdhsa_exception_fp_ieee_invalid_op 0
		.amdhsa_exception_fp_denorm_src 0
		.amdhsa_exception_fp_ieee_div_zero 0
		.amdhsa_exception_fp_ieee_overflow 0
		.amdhsa_exception_fp_ieee_underflow 0
		.amdhsa_exception_fp_ieee_inexact 0
		.amdhsa_exception_int_div_zero 0
	.end_amdhsa_kernel
	.section	.text._Z20gated_delta_net_cudaILi32ELb1ELb1EEvPKfS1_S1_S1_S1_S1_Pfllllllllllll15HIP_vector_typeIjLj3EES4_fi,"axG",@progbits,_Z20gated_delta_net_cudaILi32ELb1ELb1EEvPKfS1_S1_S1_S1_S1_Pfllllllllllll15HIP_vector_typeIjLj3EES4_fi,comdat
.Lfunc_end1:
	.size	_Z20gated_delta_net_cudaILi32ELb1ELb1EEvPKfS1_S1_S1_S1_S1_Pfllllllllllll15HIP_vector_typeIjLj3EES4_fi, .Lfunc_end1-_Z20gated_delta_net_cudaILi32ELb1ELb1EEvPKfS1_S1_S1_S1_S1_Pfllllllllllll15HIP_vector_typeIjLj3EES4_fi
                                        ; -- End function
	.set _Z20gated_delta_net_cudaILi32ELb1ELb1EEvPKfS1_S1_S1_S1_S1_Pfllllllllllll15HIP_vector_typeIjLj3EES4_fi.num_vgpr, 25
	.set _Z20gated_delta_net_cudaILi32ELb1ELb1EEvPKfS1_S1_S1_S1_S1_Pfllllllllllll15HIP_vector_typeIjLj3EES4_fi.num_agpr, 0
	.set _Z20gated_delta_net_cudaILi32ELb1ELb1EEvPKfS1_S1_S1_S1_S1_Pfllllllllllll15HIP_vector_typeIjLj3EES4_fi.numbered_sgpr, 56
	.set _Z20gated_delta_net_cudaILi32ELb1ELb1EEvPKfS1_S1_S1_S1_S1_Pfllllllllllll15HIP_vector_typeIjLj3EES4_fi.num_named_barrier, 0
	.set _Z20gated_delta_net_cudaILi32ELb1ELb1EEvPKfS1_S1_S1_S1_S1_Pfllllllllllll15HIP_vector_typeIjLj3EES4_fi.private_seg_size, 0
	.set _Z20gated_delta_net_cudaILi32ELb1ELb1EEvPKfS1_S1_S1_S1_S1_Pfllllllllllll15HIP_vector_typeIjLj3EES4_fi.uses_vcc, 1
	.set _Z20gated_delta_net_cudaILi32ELb1ELb1EEvPKfS1_S1_S1_S1_S1_Pfllllllllllll15HIP_vector_typeIjLj3EES4_fi.uses_flat_scratch, 0
	.set _Z20gated_delta_net_cudaILi32ELb1ELb1EEvPKfS1_S1_S1_S1_S1_Pfllllllllllll15HIP_vector_typeIjLj3EES4_fi.has_dyn_sized_stack, 0
	.set _Z20gated_delta_net_cudaILi32ELb1ELb1EEvPKfS1_S1_S1_S1_S1_Pfllllllllllll15HIP_vector_typeIjLj3EES4_fi.has_recursion, 0
	.set _Z20gated_delta_net_cudaILi32ELb1ELb1EEvPKfS1_S1_S1_S1_S1_Pfllllllllllll15HIP_vector_typeIjLj3EES4_fi.has_indirect_call, 0
	.section	.AMDGPU.csdata,"",@progbits
; Kernel info:
; codeLenInByte = 1372
; TotalNumSgprs: 58
; NumVgprs: 25
; ScratchSize: 0
; MemoryBound: 0
; FloatMode: 240
; IeeeMode: 1
; LDSByteSize: 0 bytes/workgroup (compile time only)
; SGPRBlocks: 0
; VGPRBlocks: 3
; NumSGPRsForWavesPerEU: 58
; NumVGPRsForWavesPerEU: 25
; Occupancy: 16
; WaveLimiterHint : 1
; COMPUTE_PGM_RSRC2:SCRATCH_EN: 0
; COMPUTE_PGM_RSRC2:USER_SGPR: 6
; COMPUTE_PGM_RSRC2:TRAP_HANDLER: 0
; COMPUTE_PGM_RSRC2:TGID_X_EN: 1
; COMPUTE_PGM_RSRC2:TGID_Y_EN: 1
; COMPUTE_PGM_RSRC2:TGID_Z_EN: 1
; COMPUTE_PGM_RSRC2:TIDIG_COMP_CNT: 1
	.section	.text._Z20gated_delta_net_cudaILi64ELb1ELb1EEvPKfS1_S1_S1_S1_S1_Pfllllllllllll15HIP_vector_typeIjLj3EES4_fi,"axG",@progbits,_Z20gated_delta_net_cudaILi64ELb1ELb1EEvPKfS1_S1_S1_S1_S1_Pfllllllllllll15HIP_vector_typeIjLj3EES4_fi,comdat
	.protected	_Z20gated_delta_net_cudaILi64ELb1ELb1EEvPKfS1_S1_S1_S1_S1_Pfllllllllllll15HIP_vector_typeIjLj3EES4_fi ; -- Begin function _Z20gated_delta_net_cudaILi64ELb1ELb1EEvPKfS1_S1_S1_S1_S1_Pfllllllllllll15HIP_vector_typeIjLj3EES4_fi
	.globl	_Z20gated_delta_net_cudaILi64ELb1ELb1EEvPKfS1_S1_S1_S1_S1_Pfllllllllllll15HIP_vector_typeIjLj3EES4_fi
	.p2align	8
	.type	_Z20gated_delta_net_cudaILi64ELb1ELb1EEvPKfS1_S1_S1_S1_S1_Pfllllllllllll15HIP_vector_typeIjLj3EES4_fi,@function
_Z20gated_delta_net_cudaILi64ELb1ELb1EEvPKfS1_S1_S1_S1_S1_Pfllllllllllll15HIP_vector_typeIjLj3EES4_fi: ; @_Z20gated_delta_net_cudaILi64ELb1ELb1EEvPKfS1_S1_S1_S1_S1_Pfllllllllllll15HIP_vector_typeIjLj3EES4_fi
; %bb.0:
	s_load_dwordx16 s[12:27], s[4:5], 0x40
	s_waitcnt lgkmcnt(0)
	v_cmp_lt_i64_e64 s0, s[12:13], 1
	s_and_b32 vcc_lo, exec_lo, s0
	s_cbranch_vccnz .LBB2_7
; %bb.1:
	s_clause 0x3
	s_load_dwordx16 s[36:51], s[4:5], 0x0
	s_load_dwordx4 s[0:3], s[4:5], 0x98
	s_load_dword s9, s[4:5], 0xa8
	s_load_dword s33, s[4:5], 0xc4
	s_mov_b32 s31, 0
	v_lshlrev_b32_e32 v16, 2, v0
	s_mul_i32 s23, s23, s6
	v_mov_b32_e32 v9, 0
	s_waitcnt lgkmcnt(0)
	s_mul_hi_u32 s0, s0, s6
	s_mul_i32 s10, s51, s7
	s_mul_hi_u32 s11, s50, s7
	s_mul_i32 s34, s50, s7
	s_add_i32 s35, s11, s10
	s_mul_i32 s10, s34, s13
	s_mul_hi_u32 s11, s34, s12
	s_mul_i32 s28, s50, s14
	s_mul_hi_u32 s30, s50, s14
	s_mul_i32 s52, s51, s14
	s_mul_i32 s14, s35, s12
	s_add_i32 s10, s11, s10
	s_mul_i32 s11, s34, s12
	s_add_i32 s14, s10, s14
	s_add_u32 s10, s11, s6
	s_addc_u32 s11, s14, 0
	s_mul_i32 s29, s50, s15
	s_lshl_b64 s[10:11], s[10:11], 8
	s_add_u32 s14, s34, s6
	s_addc_u32 s15, s35, 0
	s_add_i32 s29, s30, s29
	s_mul_i32 s53, s28, s13
	s_mul_hi_u32 s30, s28, s12
	s_add_i32 s29, s29, s52
	s_add_i32 s30, s30, s53
	s_mul_i32 s53, s29, s12
	s_mul_i32 s52, s28, s12
	s_add_i32 s53, s30, s53
	s_mul_hi_u32 s3, s3, s7
	s_lshl_b64 s[52:53], s[52:53], 8
	s_add_u32 s52, s48, s52
	s_addc_u32 s53, s49, s53
	s_add_i32 s0, s6, s0
	s_add_i32 s3, s7, s3
	s_lshr_b32 s30, s0, s1
	s_lshl_b64 s[0:1], s[34:35], 14
	s_mul_i32 s30, s30, s2
	s_lshr_b32 s34, s3, s9
	s_sub_i32 s35, s6, s30
	s_add_u32 s2, s46, s0
	s_addc_u32 s3, s47, s1
	s_lshl_b32 s30, s6, 12
	s_lshl_b64 s[0:1], s[30:31], 2
	s_mul_hi_u32 s30, s22, s6
	s_add_u32 s0, s2, s0
	s_addc_u32 s1, s3, s1
	s_lshr_b32 s2, s33, 16
	s_mul_i32 s22, s22, s6
	v_mad_u64_u32 v[1:2], null, s8, s2, v[1:2]
	s_load_dwordx2 s[8:9], s[4:5], 0x90
	v_lshlrev_b32_e32 v3, 6, v1
	v_ashrrev_i32_e32 v4, 31, v3
	v_lshlrev_b64 v[4:5], 2, v[3:4]
	v_add_nc_u32_e32 v3, v3, v0
	v_add_co_u32 v2, vcc_lo, s0, v4
	v_add_co_ci_u32_e64 v5, null, s1, v5, vcc_lo
	s_mul_i32 s0, s27, s7
	v_add_co_u32 v4, vcc_lo, v2, v16
	v_add_co_ci_u32_e64 v5, null, 0, v5, vcc_lo
	s_clause 0x1
	global_load_dword v7, v[4:5], off
	global_load_dword v8, v[4:5], off offset:128
	v_mbcnt_lo_u32_b32 v4, -1, 0
	s_mul_hi_u32 s1, s26, s7
	s_mul_i32 s26, s26, s7
	s_add_i32 s27, s1, s0
	s_load_dwordx4 s[0:3], s[4:5], 0x80
	v_xor_b32_e32 v2, 16, v4
	v_xor_b32_e32 v5, 8, v4
	;; [unrolled: 1-line block ×4, first 2 shown]
	s_lshl_b64 s[26:27], s[26:27], 2
	v_cmp_gt_i32_e32 vcc_lo, 32, v2
	s_add_u32 s26, s40, s26
	s_addc_u32 s27, s41, s27
	s_add_i32 s23, s30, s23
	s_waitcnt lgkmcnt(0)
	s_mul_i32 s9, s9, s7
	v_cndmask_b32_e32 v2, v4, v2, vcc_lo
	v_cmp_gt_i32_e32 vcc_lo, 32, v5
	s_lshl_b64 s[22:23], s[22:23], 2
	s_load_dwordx2 s[4:5], s[4:5], 0xb0
	s_add_u32 s22, s26, s22
	v_lshlrev_b32_e32 v10, 2, v2
	v_cndmask_b32_e32 v5, v4, v5, vcc_lo
	v_cmp_gt_i32_e32 vcc_lo, 32, v6
	v_ashrrev_i32_e32 v2, 31, v1
	s_mul_hi_u32 s26, s8, s7
	s_addc_u32 s23, s27, s23
	v_lshlrev_b32_e32 v11, 2, v5
	v_xor_b32_e32 v5, 2, v4
	v_cndmask_b32_e32 v13, v4, v6, vcc_lo
	s_mul_i32 s27, s8, s7
	s_mul_i32 s1, s1, s6
	s_mul_hi_u32 s7, s0, s6
	v_cmp_gt_i32_e32 vcc_lo, 32, v5
	s_add_i32 s26, s26, s9
	s_lshl_b64 s[8:9], s[14:15], 14
	s_add_i32 s30, s7, s1
	s_mul_i32 s31, s0, s6
	v_cndmask_b32_e32 v14, v4, v5, vcc_lo
	v_cmp_gt_i32_e32 vcc_lo, 32, v12
	v_lshlrev_b64 v[5:6], 2, v[1:2]
	s_lshl_b64 s[6:7], s[28:29], 12
	s_add_u32 s1, s52, s8
	v_cmp_eq_u32_e64 s0, 0, v0
	v_cndmask_b32_e32 v4, v4, v12, vcc_lo
	v_lshlrev_b32_e32 v12, 2, v13
	v_lshlrev_b32_e32 v13, 2, v14
	v_add_co_u32 v1, vcc_lo, s22, v5
	v_lshlrev_b32_e32 v14, 2, v4
	v_ashrrev_i32_e32 v4, 31, v3
	v_add_co_ci_u32_e64 v2, null, s23, v6, vcc_lo
	s_addc_u32 s8, s53, s9
	s_mul_hi_u32 s9, s20, s34
	v_lshlrev_b64 v[3:4], 2, v[3:4]
	v_add_co_u32 v0, vcc_lo, s1, v3
	s_add_i32 s1, s12, -1
	s_add_u32 s22, s48, s10
	v_add_co_ci_u32_e64 v15, null, s8, v4, vcc_lo
	s_mul_i32 s8, s21, s34
	s_addc_u32 s21, s49, s11
	s_mul_i32 s10, s17, s35
	s_mul_hi_u32 s11, s16, s35
	s_add_i32 s9, s9, s8
	s_mul_i32 s8, s20, s34
	s_add_i32 s11, s11, s10
	s_mul_i32 s10, s16, s35
	s_lshl_b64 s[14:15], s[8:9], 2
	s_lshl_b64 s[10:11], s[10:11], 2
	;; [unrolled: 1-line block ×3, first 2 shown]
	s_add_u32 s20, s14, s10
	s_addc_u32 s23, s15, s11
	s_lshl_b64 s[10:11], s[18:19], 2
	s_add_u32 s16, s27, s31
	s_addc_u32 s17, s26, s30
	v_add_co_u32 v3, vcc_lo, s22, v5
	s_lshl_b64 s[14:15], s[16:17], 8
	v_add_co_u32 v5, s18, s20, v16
	s_add_u32 s14, s42, s14
	v_add_co_ci_u32_e64 v4, null, s21, v6, vcc_lo
	v_add_co_ci_u32_e64 v6, null, s23, 0, s18
	s_addc_u32 s15, s43, s15
	v_add_co_u32 v18, s14, s14, v16
	v_add_co_ci_u32_e64 v19, null, s15, 0, s14
	v_add_co_u32 v16, vcc_lo, 0x80, v5
	v_add_co_ci_u32_e64 v17, null, 0, v6, vcc_lo
	v_add_co_u32 v5, vcc_lo, 0x80, v18
	v_add_co_ci_u32_e64 v6, null, 0, v19, vcc_lo
	s_lshl_b64 s[18:19], s[16:17], 2
	s_lshl_b64 s[14:15], s[2:3], 8
	;; [unrolled: 1-line block ×3, first 2 shown]
	s_add_u32 s18, s44, s18
	s_addc_u32 s19, s45, s19
	s_lshl_b64 s[2:3], s[2:3], 2
	s_mov_b64 s[20:21], 0
	s_branch .LBB2_3
.LBB2_2:                                ;   in Loop: Header=BB2_3 Depth=1
	v_add_co_u32 v3, vcc_lo, v3, s8
	s_add_u32 s20, s20, 1
	v_add_co_ci_u32_e64 v4, null, s9, v4, vcc_lo
	v_add_co_u32 v16, vcc_lo, v16, s10
	s_addc_u32 s21, s21, 0
	v_add_co_ci_u32_e64 v17, null, s11, v17, vcc_lo
	v_add_co_u32 v5, vcc_lo, v5, s14
	v_cmp_le_i64_e64 s22, s[12:13], s[20:21]
	v_add_co_ci_u32_e64 v6, null, s15, v6, vcc_lo
	v_add_co_u32 v1, vcc_lo, v1, s16
	v_add_co_ci_u32_e64 v2, null, s17, v2, vcc_lo
	s_add_i32 s1, s1, -1
	s_add_u32 s18, s18, s2
	s_addc_u32 s19, s19, s3
	s_and_b32 vcc_lo, exec_lo, s22
	s_cbranch_vccnz .LBB2_7
.LBB2_3:                                ; =>This Inner Loop Header: Depth=1
	s_clause 0x1
	global_load_dword v20, v[5:6], off offset:-128
	global_load_dword v21, v[5:6], off
	v_add_co_u32 v18, vcc_lo, s38, v16
	s_waitcnt lgkmcnt(0)
	v_add_co_ci_u32_e64 v19, null, s39, v17, vcc_lo
	s_clause 0x1
	global_load_dword v22, v[18:19], off offset:-128
	global_load_dword v23, v[18:19], off
	global_load_dword v24, v[1:2], off
	global_load_dword v25, v9, s[18:19]
	v_add_co_u32 v18, vcc_lo, s36, v16
	v_add_co_ci_u32_e64 v19, null, s37, v17, vcc_lo
	s_clause 0x1
	global_load_dword v26, v[18:19], off offset:-128
	global_load_dword v18, v[18:19], off
	s_waitcnt vmcnt(7)
	v_mul_f32_e32 v19, 0x3fb8aa3b, v20
	s_waitcnt vmcnt(6)
	v_mul_f32_e32 v27, 0x3fb8aa3b, v21
	v_cmp_ngt_f32_e32 vcc_lo, 0xc2ce8ed0, v20
	v_rndne_f32_e32 v28, v19
	v_fma_f32 v29, 0x3fb8aa3b, v20, -v19
	v_rndne_f32_e32 v30, v27
	v_fma_f32 v31, 0x3fb8aa3b, v21, -v27
	v_sub_f32_e32 v19, v19, v28
	v_fmac_f32_e32 v29, 0x32a5705f, v20
	v_sub_f32_e32 v27, v27, v30
	v_fmac_f32_e32 v31, 0x32a5705f, v21
	v_cvt_i32_f32_e32 v28, v28
	v_add_f32_e32 v19, v19, v29
	v_cvt_i32_f32_e32 v29, v30
	v_add_f32_e32 v27, v27, v31
	v_exp_f32_e32 v19, v19
	v_exp_f32_e32 v27, v27
	v_ldexp_f32 v19, v19, v28
	v_ldexp_f32 v27, v27, v29
	v_cndmask_b32_e32 v19, 0, v19, vcc_lo
	v_cmp_ngt_f32_e32 vcc_lo, 0xc2ce8ed0, v21
	v_cndmask_b32_e32 v27, 0, v27, vcc_lo
	v_cmp_nlt_f32_e32 vcc_lo, 0x42b17218, v20
	v_cndmask_b32_e32 v19, 0x7f800000, v19, vcc_lo
	v_cmp_nlt_f32_e32 vcc_lo, 0x42b17218, v21
	v_mul_f32_e32 v7, v7, v19
	v_cndmask_b32_e32 v20, 0x7f800000, v27, vcc_lo
	s_waitcnt vmcnt(5)
	v_fma_f32 v19, v22, v7, 0
	v_mul_f32_e32 v8, v8, v20
	s_waitcnt vmcnt(4)
	v_fmac_f32_e32 v19, v23, v8
	ds_bpermute_b32 v20, v10, v19
	s_waitcnt lgkmcnt(0)
	v_add_f32_e32 v19, v19, v20
	ds_bpermute_b32 v20, v11, v19
	s_waitcnt lgkmcnt(0)
	v_add_f32_e32 v19, v19, v20
	;; [unrolled: 3-line block ×5, first 2 shown]
	s_waitcnt vmcnt(3)
	v_sub_f32_e32 v19, v24, v19
	s_waitcnt vmcnt(2)
	v_mul_f32_e32 v19, v25, v19
	v_fmac_f32_e32 v7, v19, v22
	v_fmac_f32_e32 v8, v19, v23
	s_waitcnt vmcnt(1)
	v_fma_f32 v20, v26, v7, 0
	s_waitcnt vmcnt(0)
	v_fmac_f32_e32 v20, v18, v8
	ds_bpermute_b32 v18, v10, v20
	s_waitcnt lgkmcnt(0)
	v_add_f32_e32 v18, v20, v18
	ds_bpermute_b32 v19, v11, v18
	s_waitcnt lgkmcnt(0)
	v_add_f32_e32 v18, v18, v19
	ds_bpermute_b32 v19, v12, v18
	s_waitcnt lgkmcnt(0)
	v_add_f32_e32 v18, v18, v19
	ds_bpermute_b32 v19, v13, v18
	s_waitcnt lgkmcnt(0)
	v_add_f32_e32 v18, v18, v19
	ds_bpermute_b32 v19, v14, v18
	s_and_saveexec_b32 s22, s0
	s_cbranch_execz .LBB2_5
; %bb.4:                                ;   in Loop: Header=BB2_3 Depth=1
	s_waitcnt lgkmcnt(0)
	v_add_f32_e32 v18, v18, v19
	v_mul_f32_e32 v18, s4, v18
	global_store_dword v[3:4], v18, off
.LBB2_5:                                ;   in Loop: Header=BB2_3 Depth=1
	s_or_b32 exec_lo, exec_lo, s22
	s_cmp_lt_i32 s1, 0
	s_cselect_b32 s22, -1, 0
	s_cmp_ge_i32 s1, s5
	s_cselect_b32 s23, -1, 0
	s_or_b32 s22, s22, s23
	s_and_b32 vcc_lo, exec_lo, s22
	s_cbranch_vccnz .LBB2_2
; %bb.6:                                ;   in Loop: Header=BB2_3 Depth=1
	s_mul_i32 s23, s7, s1
	s_mul_hi_u32 s24, s6, s1
	s_mul_i32 s22, s6, s1
	s_add_i32 s23, s24, s23
	s_lshl_b64 s[22:23], s[22:23], 2
	v_add_co_u32 v18, vcc_lo, v0, s22
	s_waitcnt lgkmcnt(0)
	v_add_co_ci_u32_e64 v19, null, s23, v15, vcc_lo
	global_store_dword v[18:19], v7, off
	global_store_dword v[18:19], v8, off offset:128
	s_branch .LBB2_2
.LBB2_7:
	s_endpgm
	.section	.rodata,"a",@progbits
	.p2align	6, 0x0
	.amdhsa_kernel _Z20gated_delta_net_cudaILi64ELb1ELb1EEvPKfS1_S1_S1_S1_S1_Pfllllllllllll15HIP_vector_typeIjLj3EES4_fi
		.amdhsa_group_segment_fixed_size 0
		.amdhsa_private_segment_fixed_size 0
		.amdhsa_kernarg_size 440
		.amdhsa_user_sgpr_count 6
		.amdhsa_user_sgpr_private_segment_buffer 1
		.amdhsa_user_sgpr_dispatch_ptr 0
		.amdhsa_user_sgpr_queue_ptr 0
		.amdhsa_user_sgpr_kernarg_segment_ptr 1
		.amdhsa_user_sgpr_dispatch_id 0
		.amdhsa_user_sgpr_flat_scratch_init 0
		.amdhsa_user_sgpr_private_segment_size 0
		.amdhsa_wavefront_size32 1
		.amdhsa_uses_dynamic_stack 0
		.amdhsa_system_sgpr_private_segment_wavefront_offset 0
		.amdhsa_system_sgpr_workgroup_id_x 1
		.amdhsa_system_sgpr_workgroup_id_y 1
		.amdhsa_system_sgpr_workgroup_id_z 1
		.amdhsa_system_sgpr_workgroup_info 0
		.amdhsa_system_vgpr_workitem_id 1
		.amdhsa_next_free_vgpr 32
		.amdhsa_next_free_sgpr 54
		.amdhsa_reserve_vcc 1
		.amdhsa_reserve_flat_scratch 0
		.amdhsa_float_round_mode_32 0
		.amdhsa_float_round_mode_16_64 0
		.amdhsa_float_denorm_mode_32 3
		.amdhsa_float_denorm_mode_16_64 3
		.amdhsa_dx10_clamp 1
		.amdhsa_ieee_mode 1
		.amdhsa_fp16_overflow 0
		.amdhsa_workgroup_processor_mode 1
		.amdhsa_memory_ordered 1
		.amdhsa_forward_progress 1
		.amdhsa_shared_vgpr_count 0
		.amdhsa_exception_fp_ieee_invalid_op 0
		.amdhsa_exception_fp_denorm_src 0
		.amdhsa_exception_fp_ieee_div_zero 0
		.amdhsa_exception_fp_ieee_overflow 0
		.amdhsa_exception_fp_ieee_underflow 0
		.amdhsa_exception_fp_ieee_inexact 0
		.amdhsa_exception_int_div_zero 0
	.end_amdhsa_kernel
	.section	.text._Z20gated_delta_net_cudaILi64ELb1ELb1EEvPKfS1_S1_S1_S1_S1_Pfllllllllllll15HIP_vector_typeIjLj3EES4_fi,"axG",@progbits,_Z20gated_delta_net_cudaILi64ELb1ELb1EEvPKfS1_S1_S1_S1_S1_Pfllllllllllll15HIP_vector_typeIjLj3EES4_fi,comdat
.Lfunc_end2:
	.size	_Z20gated_delta_net_cudaILi64ELb1ELb1EEvPKfS1_S1_S1_S1_S1_Pfllllllllllll15HIP_vector_typeIjLj3EES4_fi, .Lfunc_end2-_Z20gated_delta_net_cudaILi64ELb1ELb1EEvPKfS1_S1_S1_S1_S1_Pfllllllllllll15HIP_vector_typeIjLj3EES4_fi
                                        ; -- End function
	.set _Z20gated_delta_net_cudaILi64ELb1ELb1EEvPKfS1_S1_S1_S1_S1_Pfllllllllllll15HIP_vector_typeIjLj3EES4_fi.num_vgpr, 32
	.set _Z20gated_delta_net_cudaILi64ELb1ELb1EEvPKfS1_S1_S1_S1_S1_Pfllllllllllll15HIP_vector_typeIjLj3EES4_fi.num_agpr, 0
	.set _Z20gated_delta_net_cudaILi64ELb1ELb1EEvPKfS1_S1_S1_S1_S1_Pfllllllllllll15HIP_vector_typeIjLj3EES4_fi.numbered_sgpr, 54
	.set _Z20gated_delta_net_cudaILi64ELb1ELb1EEvPKfS1_S1_S1_S1_S1_Pfllllllllllll15HIP_vector_typeIjLj3EES4_fi.num_named_barrier, 0
	.set _Z20gated_delta_net_cudaILi64ELb1ELb1EEvPKfS1_S1_S1_S1_S1_Pfllllllllllll15HIP_vector_typeIjLj3EES4_fi.private_seg_size, 0
	.set _Z20gated_delta_net_cudaILi64ELb1ELb1EEvPKfS1_S1_S1_S1_S1_Pfllllllllllll15HIP_vector_typeIjLj3EES4_fi.uses_vcc, 1
	.set _Z20gated_delta_net_cudaILi64ELb1ELb1EEvPKfS1_S1_S1_S1_S1_Pfllllllllllll15HIP_vector_typeIjLj3EES4_fi.uses_flat_scratch, 0
	.set _Z20gated_delta_net_cudaILi64ELb1ELb1EEvPKfS1_S1_S1_S1_S1_Pfllllllllllll15HIP_vector_typeIjLj3EES4_fi.has_dyn_sized_stack, 0
	.set _Z20gated_delta_net_cudaILi64ELb1ELb1EEvPKfS1_S1_S1_S1_S1_Pfllllllllllll15HIP_vector_typeIjLj3EES4_fi.has_recursion, 0
	.set _Z20gated_delta_net_cudaILi64ELb1ELb1EEvPKfS1_S1_S1_S1_S1_Pfllllllllllll15HIP_vector_typeIjLj3EES4_fi.has_indirect_call, 0
	.section	.AMDGPU.csdata,"",@progbits
; Kernel info:
; codeLenInByte = 1572
; TotalNumSgprs: 56
; NumVgprs: 32
; ScratchSize: 0
; MemoryBound: 0
; FloatMode: 240
; IeeeMode: 1
; LDSByteSize: 0 bytes/workgroup (compile time only)
; SGPRBlocks: 0
; VGPRBlocks: 3
; NumSGPRsForWavesPerEU: 56
; NumVGPRsForWavesPerEU: 32
; Occupancy: 16
; WaveLimiterHint : 1
; COMPUTE_PGM_RSRC2:SCRATCH_EN: 0
; COMPUTE_PGM_RSRC2:USER_SGPR: 6
; COMPUTE_PGM_RSRC2:TRAP_HANDLER: 0
; COMPUTE_PGM_RSRC2:TGID_X_EN: 1
; COMPUTE_PGM_RSRC2:TGID_Y_EN: 1
; COMPUTE_PGM_RSRC2:TGID_Z_EN: 1
; COMPUTE_PGM_RSRC2:TIDIG_COMP_CNT: 1
	.section	.text._Z20gated_delta_net_cudaILi128ELb1ELb1EEvPKfS1_S1_S1_S1_S1_Pfllllllllllll15HIP_vector_typeIjLj3EES4_fi,"axG",@progbits,_Z20gated_delta_net_cudaILi128ELb1ELb1EEvPKfS1_S1_S1_S1_S1_Pfllllllllllll15HIP_vector_typeIjLj3EES4_fi,comdat
	.protected	_Z20gated_delta_net_cudaILi128ELb1ELb1EEvPKfS1_S1_S1_S1_S1_Pfllllllllllll15HIP_vector_typeIjLj3EES4_fi ; -- Begin function _Z20gated_delta_net_cudaILi128ELb1ELb1EEvPKfS1_S1_S1_S1_S1_Pfllllllllllll15HIP_vector_typeIjLj3EES4_fi
	.globl	_Z20gated_delta_net_cudaILi128ELb1ELb1EEvPKfS1_S1_S1_S1_S1_Pfllllllllllll15HIP_vector_typeIjLj3EES4_fi
	.p2align	8
	.type	_Z20gated_delta_net_cudaILi128ELb1ELb1EEvPKfS1_S1_S1_S1_S1_Pfllllllllllll15HIP_vector_typeIjLj3EES4_fi,@function
_Z20gated_delta_net_cudaILi128ELb1ELb1EEvPKfS1_S1_S1_S1_S1_Pfllllllllllll15HIP_vector_typeIjLj3EES4_fi: ; @_Z20gated_delta_net_cudaILi128ELb1ELb1EEvPKfS1_S1_S1_S1_S1_Pfllllllllllll15HIP_vector_typeIjLj3EES4_fi
; %bb.0:
	s_load_dwordx16 s[12:27], s[4:5], 0x40
	s_waitcnt lgkmcnt(0)
	v_cmp_lt_i64_e64 s0, s[12:13], 1
	s_and_b32 vcc_lo, exec_lo, s0
	s_cbranch_vccnz .LBB3_7
; %bb.1:
	s_clause 0x3
	s_load_dwordx16 s[36:51], s[4:5], 0x0
	s_load_dwordx4 s[0:3], s[4:5], 0x98
	s_load_dword s9, s[4:5], 0xa8
	s_load_dword s33, s[4:5], 0xc4
	s_mov_b32 s31, 0
	v_lshlrev_b32_e32 v5, 2, v0
	s_waitcnt lgkmcnt(0)
	s_mul_hi_u32 s0, s0, s6
	s_mul_i32 s11, s51, s7
	s_mul_hi_u32 s28, s50, s7
	s_mul_i32 s34, s50, s7
	s_mul_i32 s10, s50, s14
	s_mul_hi_u32 s52, s50, s14
	s_mul_i32 s53, s51, s14
	s_add_i32 s35, s28, s11
	s_mul_i32 s11, s34, s13
	s_mul_hi_u32 s14, s34, s12
	s_mul_i32 s30, s50, s15
	s_mul_i32 s15, s35, s12
	s_add_i32 s11, s14, s11
	s_mul_i32 s14, s34, s12
	s_add_i32 s11, s11, s15
	s_add_u32 s14, s14, s6
	s_addc_u32 s15, s11, 0
	s_mul_i32 s54, s10, s13
	s_lshl_b64 s[14:15], s[14:15], 9
	s_add_u32 s28, s34, s6
	s_addc_u32 s29, s35, 0
	s_add_i32 s11, s52, s30
	s_mul_hi_u32 s30, s10, s12
	s_add_i32 s11, s11, s53
	s_add_i32 s30, s30, s54
	s_mul_i32 s53, s11, s12
	s_mul_i32 s52, s10, s12
	s_add_i32 s53, s30, s53
	s_mul_hi_u32 s3, s3, s7
	s_lshl_b64 s[52:53], s[52:53], 9
	s_add_u32 s52, s48, s52
	s_addc_u32 s53, s49, s53
	s_add_i32 s0, s6, s0
	s_add_i32 s3, s7, s3
	s_lshr_b32 s30, s0, s1
	s_lshl_b64 s[0:1], s[34:35], 16
	s_mul_i32 s30, s30, s2
	s_lshr_b32 s2, s3, s9
	s_sub_i32 s9, s6, s30
	s_add_u32 s3, s46, s0
	s_addc_u32 s34, s47, s1
	s_lshl_b32 s30, s6, 14
	s_lshl_b64 s[0:1], s[30:31], 2
	s_add_u32 s0, s3, s0
	s_addc_u32 s1, s34, s1
	s_lshr_b32 s3, s33, 16
	v_mad_u64_u32 v[1:2], null, s8, s3, v[1:2]
	s_mul_hi_u32 s3, s16, s9
	v_lshlrev_b32_e32 v3, 7, v1
	v_ashrrev_i32_e32 v4, 31, v3
	v_lshlrev_b64 v[6:7], 2, v[3:4]
	v_or_b32_e32 v3, v3, v0
	v_add_co_u32 v2, vcc_lo, s0, v6
	v_add_co_ci_u32_e64 v4, null, s1, v7, vcc_lo
	s_mul_i32 s0, s21, s2
	v_add_co_u32 v9, vcc_lo, v2, v5
	v_add_co_ci_u32_e64 v10, null, 0, v4, vcc_lo
	s_clause 0x3
	global_load_dword v6, v[9:10], off
	global_load_dword v7, v[9:10], off offset:128
	global_load_dword v8, v[9:10], off offset:256
	;; [unrolled: 1-line block ×3, first 2 shown]
	v_mbcnt_lo_u32_b32 v4, -1, 0
	s_mul_hi_u32 s1, s20, s2
	s_mul_hi_u32 s21, s22, s6
	s_add_i32 s1, s1, s0
	s_mul_i32 s0, s20, s2
	v_xor_b32_e32 v2, 16, v4
	s_lshl_b64 s[0:1], s[0:1], 2
	s_mul_i32 s2, s17, s9
	v_xor_b32_e32 v12, 8, v4
	s_add_u32 s20, s36, s0
	v_cmp_gt_i32_e32 vcc_lo, 32, v2
	s_addc_u32 s17, s37, s1
	s_add_i32 s3, s3, s2
	s_mul_i32 s2, s16, s9
	v_xor_b32_e32 v13, 2, v4
	v_cndmask_b32_e32 v2, v4, v2, vcc_lo
	s_lshl_b64 s[2:3], s[2:3], 2
	v_cmp_gt_i32_e32 vcc_lo, 32, v12
	s_add_u32 s30, s20, s2
	s_addc_u32 s31, s17, s3
	v_lshlrev_b32_e32 v11, 2, v2
	v_xor_b32_e32 v2, 4, v4
	s_add_u32 s0, s38, s0
	s_addc_u32 s1, s39, s1
	s_add_u32 s33, s0, s2
	s_mul_i32 s0, s27, s7
	s_mul_hi_u32 s2, s26, s7
	v_cndmask_b32_e32 v12, v4, v12, vcc_lo
	v_cmp_gt_i32_e32 vcc_lo, 32, v2
	s_load_dwordx2 s[8:9], s[4:5], 0x90
	s_addc_u32 s27, s1, s3
	s_add_i32 s17, s2, s0
	s_load_dwordx4 s[0:3], s[4:5], 0x80
	v_xor_b32_e32 v14, 1, v4
	v_cndmask_b32_e32 v15, v4, v2, vcc_lo
	v_cmp_gt_i32_e32 vcc_lo, 32, v13
	s_mul_i32 s16, s26, s7
	v_ashrrev_i32_e32 v2, 31, v1
	s_lshl_b64 s[16:17], s[16:17], 2
	s_load_dwordx2 s[4:5], s[4:5], 0xb0
	v_cndmask_b32_e32 v16, v4, v13, vcc_lo
	v_cmp_gt_i32_e32 vcc_lo, 32, v14
	s_add_u32 s20, s40, s16
	s_mul_i32 s16, s23, s6
	s_addc_u32 s23, s41, s17
	s_add_i32 s17, s21, s16
	v_cndmask_b32_e32 v4, v4, v14, vcc_lo
	s_mul_i32 s16, s22, s6
	v_lshlrev_b32_e32 v13, 2, v15
	s_lshl_b64 s[16:17], s[16:17], 2
	s_waitcnt lgkmcnt(0)
	s_mul_i32 s9, s9, s7
	v_lshlrev_b32_e32 v15, 2, v4
	v_ashrrev_i32_e32 v4, 31, v3
	s_add_u32 s16, s20, s16
	s_mul_hi_u32 s20, s8, s7
	s_mul_i32 s21, s8, s7
	s_mul_i32 s1, s1, s6
	s_mul_hi_u32 s7, s0, s6
	v_lshlrev_b64 v[17:18], 2, v[1:2]
	s_addc_u32 s17, s23, s17
	s_add_i32 s20, s20, s9
	s_lshl_b64 s[8:9], s[28:29], 16
	s_add_i32 s22, s7, s1
	s_mul_i32 s23, s0, s6
	s_lshl_b64 s[6:7], s[10:11], 14
	s_add_u32 s26, s52, s8
	v_lshlrev_b64 v[3:4], 2, v[3:4]
	s_addc_u32 s28, s53, s9
	s_add_i32 s1, s12, -1
	s_add_u32 s29, s48, s14
	v_add_co_u32 v1, vcc_lo, s16, v17
	s_addc_u32 s34, s49, s15
	s_lshl_b64 s[8:9], s[50:51], 9
	s_lshl_b64 s[10:11], s[18:19], 2
	s_add_u32 s16, s21, s23
	v_add_co_ci_u32_e64 v2, null, s17, v18, vcc_lo
	s_addc_u32 s17, s20, s22
	v_cmp_eq_u32_e64 s0, 0, v0
	v_add_co_u32 v0, vcc_lo, s26, v3
	s_lshl_b64 s[14:15], s[16:17], 9
	v_lshlrev_b32_e32 v14, 2, v16
	v_add_co_ci_u32_e64 v16, null, s28, v4, vcc_lo
	v_add_co_u32 v3, vcc_lo, s29, v17
	s_add_u32 s22, s42, s14
	v_mov_b32_e32 v10, 0
	v_lshlrev_b32_e32 v12, 2, v12
	v_add_co_ci_u32_e64 v4, null, s34, v18, vcc_lo
	s_addc_u32 s23, s43, s15
	s_lshl_b64 s[18:19], s[16:17], 2
	s_lshl_b64 s[14:15], s[2:3], 9
	;; [unrolled: 1-line block ×3, first 2 shown]
	s_add_u32 s18, s44, s18
	s_addc_u32 s19, s45, s19
	s_lshl_b64 s[2:3], s[2:3], 2
	s_mov_b64 s[20:21], 0
	s_branch .LBB3_3
.LBB3_2:                                ;   in Loop: Header=BB3_3 Depth=1
	s_add_u32 s20, s20, 1
	s_addc_u32 s21, s21, 0
	s_add_i32 s1, s1, -1
	v_add_co_u32 v3, vcc_lo, v3, s8
	s_add_u32 s30, s30, s10
	s_addc_u32 s31, s31, s11
	v_cmp_le_i64_e64 s24, s[12:13], s[20:21]
	v_add_co_ci_u32_e64 v4, null, s9, v4, vcc_lo
	s_add_u32 s22, s22, s14
	v_add_co_u32 v1, vcc_lo, v1, s16
	s_addc_u32 s23, s23, s15
	s_add_u32 s33, s33, s10
	v_add_co_ci_u32_e64 v2, null, s17, v2, vcc_lo
	s_addc_u32 s27, s27, s11
	s_add_u32 s18, s18, s2
	s_addc_u32 s19, s19, s3
	s_and_b32 vcc_lo, exec_lo, s24
	s_cbranch_vccnz .LBB3_7
.LBB3_3:                                ; =>This Inner Loop Header: Depth=1
	v_add_co_u32 v17, s24, s22, v5
	s_waitcnt lgkmcnt(0)
	v_add_co_ci_u32_e64 v18, null, s23, 0, s24
	s_clause 0x3
	global_load_dword v19, v[17:18], off
	global_load_dword v20, v[17:18], off offset:128
	global_load_dword v21, v[17:18], off offset:256
	global_load_dword v22, v[17:18], off offset:384
	v_add_co_u32 v17, s24, s33, v5
	v_add_co_ci_u32_e64 v18, null, s27, 0, s24
	s_clause 0x3
	global_load_dword v23, v[17:18], off
	global_load_dword v24, v[17:18], off offset:128
	global_load_dword v25, v[17:18], off offset:256
	;; [unrolled: 1-line block ×3, first 2 shown]
	global_load_dword v27, v[1:2], off
	global_load_dword v28, v10, s[18:19]
	v_add_co_u32 v17, s24, s30, v5
	v_add_co_ci_u32_e64 v18, null, s31, 0, s24
	s_clause 0x3
	global_load_dword v29, v[17:18], off
	global_load_dword v30, v[17:18], off offset:128
	global_load_dword v31, v[17:18], off offset:256
	;; [unrolled: 1-line block ×3, first 2 shown]
	s_waitcnt vmcnt(13)
	v_mul_f32_e32 v18, 0x3fb8aa3b, v19
	s_waitcnt vmcnt(12)
	v_mul_f32_e32 v32, 0x3fb8aa3b, v20
	;; [unrolled: 2-line block ×4, first 2 shown]
	v_cmp_ngt_f32_e32 vcc_lo, 0xc2ce8ed0, v19
	v_fma_f32 v35, 0x3fb8aa3b, v19, -v18
	v_rndne_f32_e32 v36, v18
	v_fma_f32 v37, 0x3fb8aa3b, v20, -v32
	v_rndne_f32_e32 v38, v32
	v_fma_f32 v39, 0x3fb8aa3b, v21, -v33
	v_fmac_f32_e32 v35, 0x32a5705f, v19
	v_sub_f32_e32 v18, v18, v36
	v_fmac_f32_e32 v37, 0x32a5705f, v20
	v_sub_f32_e32 v32, v32, v38
	v_rndne_f32_e32 v40, v33
	v_fmac_f32_e32 v39, 0x32a5705f, v21
	v_add_f32_e32 v18, v18, v35
	v_cvt_i32_f32_e32 v35, v36
	v_add_f32_e32 v32, v32, v37
	v_sub_f32_e32 v33, v33, v40
	v_fma_f32 v41, 0x3fb8aa3b, v22, -v34
	v_exp_f32_e32 v18, v18
	v_rndne_f32_e32 v42, v34
	v_exp_f32_e32 v32, v32
	v_add_f32_e32 v33, v33, v39
	v_cvt_i32_f32_e32 v36, v38
	v_fmac_f32_e32 v41, 0x32a5705f, v22
	v_sub_f32_e32 v34, v34, v42
	v_cvt_i32_f32_e32 v37, v40
	v_exp_f32_e32 v33, v33
	v_ldexp_f32 v18, v18, v35
	v_add_f32_e32 v34, v34, v41
	v_ldexp_f32 v32, v32, v36
	v_cvt_i32_f32_e32 v35, v42
	v_cndmask_b32_e32 v18, 0, v18, vcc_lo
	v_cmp_ngt_f32_e32 vcc_lo, 0xc2ce8ed0, v20
	v_exp_f32_e32 v34, v34
	v_ldexp_f32 v33, v33, v37
	v_cndmask_b32_e32 v32, 0, v32, vcc_lo
	v_cmp_nlt_f32_e32 vcc_lo, 0x42b17218, v19
	v_ldexp_f32 v34, v34, v35
	v_cndmask_b32_e32 v18, 0x7f800000, v18, vcc_lo
	v_cmp_ngt_f32_e32 vcc_lo, 0xc2ce8ed0, v21
	v_mul_f32_e32 v6, v6, v18
	v_cndmask_b32_e32 v19, 0, v33, vcc_lo
	v_cmp_nlt_f32_e32 vcc_lo, 0x42b17218, v20
	v_cndmask_b32_e32 v20, 0x7f800000, v32, vcc_lo
	v_cmp_ngt_f32_e32 vcc_lo, 0xc2ce8ed0, v22
	v_mul_f32_e32 v7, v7, v20
	v_cndmask_b32_e32 v18, 0, v34, vcc_lo
	v_cmp_nlt_f32_e32 vcc_lo, 0x42b17218, v21
	s_waitcnt vmcnt(9)
	v_fma_f32 v20, v23, v6, 0
	v_cndmask_b32_e32 v19, 0x7f800000, v19, vcc_lo
	v_cmp_nlt_f32_e32 vcc_lo, 0x42b17218, v22
	s_waitcnt vmcnt(8)
	v_fmac_f32_e32 v20, v24, v7
	v_mul_f32_e32 v8, v8, v19
	v_cndmask_b32_e32 v18, 0x7f800000, v18, vcc_lo
	s_waitcnt vmcnt(7)
	v_fmac_f32_e32 v20, v25, v8
	v_mul_f32_e32 v9, v9, v18
	s_waitcnt vmcnt(6)
	v_fmac_f32_e32 v20, v26, v9
	ds_bpermute_b32 v18, v11, v20
	s_waitcnt lgkmcnt(0)
	v_add_f32_e32 v18, v20, v18
	ds_bpermute_b32 v19, v12, v18
	s_waitcnt lgkmcnt(0)
	v_add_f32_e32 v18, v18, v19
	;; [unrolled: 3-line block ×5, first 2 shown]
	s_waitcnt vmcnt(5)
	v_sub_f32_e32 v18, v27, v18
	s_waitcnt vmcnt(4)
	v_mul_f32_e32 v18, v28, v18
	v_fmac_f32_e32 v6, v18, v23
	v_fmac_f32_e32 v7, v18, v24
	;; [unrolled: 1-line block ×4, first 2 shown]
	s_waitcnt vmcnt(3)
	v_fma_f32 v19, v29, v6, 0
	s_waitcnt vmcnt(2)
	v_fmac_f32_e32 v19, v30, v7
	s_waitcnt vmcnt(1)
	v_fmac_f32_e32 v19, v31, v8
	;; [unrolled: 2-line block ×3, first 2 shown]
	ds_bpermute_b32 v17, v11, v19
	s_waitcnt lgkmcnt(0)
	v_add_f32_e32 v17, v19, v17
	ds_bpermute_b32 v18, v12, v17
	s_waitcnt lgkmcnt(0)
	v_add_f32_e32 v17, v17, v18
	;; [unrolled: 3-line block ×4, first 2 shown]
	ds_bpermute_b32 v18, v15, v17
	s_and_saveexec_b32 s24, s0
	s_cbranch_execz .LBB3_5
; %bb.4:                                ;   in Loop: Header=BB3_3 Depth=1
	s_waitcnt lgkmcnt(0)
	v_add_f32_e32 v17, v17, v18
	v_mul_f32_e32 v17, s4, v17
	global_store_dword v[3:4], v17, off
.LBB3_5:                                ;   in Loop: Header=BB3_3 Depth=1
	s_or_b32 exec_lo, exec_lo, s24
	s_cmp_lt_i32 s1, 0
	s_cselect_b32 s24, -1, 0
	s_cmp_ge_i32 s1, s5
	s_cselect_b32 s25, -1, 0
	s_or_b32 s24, s24, s25
	s_and_b32 vcc_lo, exec_lo, s24
	s_cbranch_vccnz .LBB3_2
; %bb.6:                                ;   in Loop: Header=BB3_3 Depth=1
	s_mul_i32 s25, s7, s1
	s_mul_hi_u32 s26, s6, s1
	s_mul_i32 s24, s6, s1
	s_add_i32 s25, s26, s25
	s_lshl_b64 s[24:25], s[24:25], 2
	v_add_co_u32 v17, vcc_lo, v0, s24
	s_waitcnt lgkmcnt(0)
	v_add_co_ci_u32_e64 v18, null, s25, v16, vcc_lo
	global_store_dword v[17:18], v6, off
	global_store_dword v[17:18], v7, off offset:128
	global_store_dword v[17:18], v8, off offset:256
	;; [unrolled: 1-line block ×3, first 2 shown]
	s_branch .LBB3_2
.LBB3_7:
	s_endpgm
	.section	.rodata,"a",@progbits
	.p2align	6, 0x0
	.amdhsa_kernel _Z20gated_delta_net_cudaILi128ELb1ELb1EEvPKfS1_S1_S1_S1_S1_Pfllllllllllll15HIP_vector_typeIjLj3EES4_fi
		.amdhsa_group_segment_fixed_size 0
		.amdhsa_private_segment_fixed_size 0
		.amdhsa_kernarg_size 440
		.amdhsa_user_sgpr_count 6
		.amdhsa_user_sgpr_private_segment_buffer 1
		.amdhsa_user_sgpr_dispatch_ptr 0
		.amdhsa_user_sgpr_queue_ptr 0
		.amdhsa_user_sgpr_kernarg_segment_ptr 1
		.amdhsa_user_sgpr_dispatch_id 0
		.amdhsa_user_sgpr_flat_scratch_init 0
		.amdhsa_user_sgpr_private_segment_size 0
		.amdhsa_wavefront_size32 1
		.amdhsa_uses_dynamic_stack 0
		.amdhsa_system_sgpr_private_segment_wavefront_offset 0
		.amdhsa_system_sgpr_workgroup_id_x 1
		.amdhsa_system_sgpr_workgroup_id_y 1
		.amdhsa_system_sgpr_workgroup_id_z 1
		.amdhsa_system_sgpr_workgroup_info 0
		.amdhsa_system_vgpr_workitem_id 1
		.amdhsa_next_free_vgpr 43
		.amdhsa_next_free_sgpr 55
		.amdhsa_reserve_vcc 1
		.amdhsa_reserve_flat_scratch 0
		.amdhsa_float_round_mode_32 0
		.amdhsa_float_round_mode_16_64 0
		.amdhsa_float_denorm_mode_32 3
		.amdhsa_float_denorm_mode_16_64 3
		.amdhsa_dx10_clamp 1
		.amdhsa_ieee_mode 1
		.amdhsa_fp16_overflow 0
		.amdhsa_workgroup_processor_mode 1
		.amdhsa_memory_ordered 1
		.amdhsa_forward_progress 1
		.amdhsa_shared_vgpr_count 0
		.amdhsa_exception_fp_ieee_invalid_op 0
		.amdhsa_exception_fp_denorm_src 0
		.amdhsa_exception_fp_ieee_div_zero 0
		.amdhsa_exception_fp_ieee_overflow 0
		.amdhsa_exception_fp_ieee_underflow 0
		.amdhsa_exception_fp_ieee_inexact 0
		.amdhsa_exception_int_div_zero 0
	.end_amdhsa_kernel
	.section	.text._Z20gated_delta_net_cudaILi128ELb1ELb1EEvPKfS1_S1_S1_S1_S1_Pfllllllllllll15HIP_vector_typeIjLj3EES4_fi,"axG",@progbits,_Z20gated_delta_net_cudaILi128ELb1ELb1EEvPKfS1_S1_S1_S1_S1_Pfllllllllllll15HIP_vector_typeIjLj3EES4_fi,comdat
.Lfunc_end3:
	.size	_Z20gated_delta_net_cudaILi128ELb1ELb1EEvPKfS1_S1_S1_S1_S1_Pfllllllllllll15HIP_vector_typeIjLj3EES4_fi, .Lfunc_end3-_Z20gated_delta_net_cudaILi128ELb1ELb1EEvPKfS1_S1_S1_S1_S1_Pfllllllllllll15HIP_vector_typeIjLj3EES4_fi
                                        ; -- End function
	.set _Z20gated_delta_net_cudaILi128ELb1ELb1EEvPKfS1_S1_S1_S1_S1_Pfllllllllllll15HIP_vector_typeIjLj3EES4_fi.num_vgpr, 43
	.set _Z20gated_delta_net_cudaILi128ELb1ELb1EEvPKfS1_S1_S1_S1_S1_Pfllllllllllll15HIP_vector_typeIjLj3EES4_fi.num_agpr, 0
	.set _Z20gated_delta_net_cudaILi128ELb1ELb1EEvPKfS1_S1_S1_S1_S1_Pfllllllllllll15HIP_vector_typeIjLj3EES4_fi.numbered_sgpr, 55
	.set _Z20gated_delta_net_cudaILi128ELb1ELb1EEvPKfS1_S1_S1_S1_S1_Pfllllllllllll15HIP_vector_typeIjLj3EES4_fi.num_named_barrier, 0
	.set _Z20gated_delta_net_cudaILi128ELb1ELb1EEvPKfS1_S1_S1_S1_S1_Pfllllllllllll15HIP_vector_typeIjLj3EES4_fi.private_seg_size, 0
	.set _Z20gated_delta_net_cudaILi128ELb1ELb1EEvPKfS1_S1_S1_S1_S1_Pfllllllllllll15HIP_vector_typeIjLj3EES4_fi.uses_vcc, 1
	.set _Z20gated_delta_net_cudaILi128ELb1ELb1EEvPKfS1_S1_S1_S1_S1_Pfllllllllllll15HIP_vector_typeIjLj3EES4_fi.uses_flat_scratch, 0
	.set _Z20gated_delta_net_cudaILi128ELb1ELb1EEvPKfS1_S1_S1_S1_S1_Pfllllllllllll15HIP_vector_typeIjLj3EES4_fi.has_dyn_sized_stack, 0
	.set _Z20gated_delta_net_cudaILi128ELb1ELb1EEvPKfS1_S1_S1_S1_S1_Pfllllllllllll15HIP_vector_typeIjLj3EES4_fi.has_recursion, 0
	.set _Z20gated_delta_net_cudaILi128ELb1ELb1EEvPKfS1_S1_S1_S1_S1_Pfllllllllllll15HIP_vector_typeIjLj3EES4_fi.has_indirect_call, 0
	.section	.AMDGPU.csdata,"",@progbits
; Kernel info:
; codeLenInByte = 1836
; TotalNumSgprs: 57
; NumVgprs: 43
; ScratchSize: 0
; MemoryBound: 0
; FloatMode: 240
; IeeeMode: 1
; LDSByteSize: 0 bytes/workgroup (compile time only)
; SGPRBlocks: 0
; VGPRBlocks: 5
; NumSGPRsForWavesPerEU: 57
; NumVGPRsForWavesPerEU: 43
; Occupancy: 16
; WaveLimiterHint : 1
; COMPUTE_PGM_RSRC2:SCRATCH_EN: 0
; COMPUTE_PGM_RSRC2:USER_SGPR: 6
; COMPUTE_PGM_RSRC2:TRAP_HANDLER: 0
; COMPUTE_PGM_RSRC2:TGID_X_EN: 1
; COMPUTE_PGM_RSRC2:TGID_Y_EN: 1
; COMPUTE_PGM_RSRC2:TGID_Z_EN: 1
; COMPUTE_PGM_RSRC2:TIDIG_COMP_CNT: 1
	.section	.text._Z20gated_delta_net_cudaILi16ELb1ELb0EEvPKfS1_S1_S1_S1_S1_Pfllllllllllll15HIP_vector_typeIjLj3EES4_fi,"axG",@progbits,_Z20gated_delta_net_cudaILi16ELb1ELb0EEvPKfS1_S1_S1_S1_S1_Pfllllllllllll15HIP_vector_typeIjLj3EES4_fi,comdat
	.protected	_Z20gated_delta_net_cudaILi16ELb1ELb0EEvPKfS1_S1_S1_S1_S1_Pfllllllllllll15HIP_vector_typeIjLj3EES4_fi ; -- Begin function _Z20gated_delta_net_cudaILi16ELb1ELb0EEvPKfS1_S1_S1_S1_S1_Pfllllllllllll15HIP_vector_typeIjLj3EES4_fi
	.globl	_Z20gated_delta_net_cudaILi16ELb1ELb0EEvPKfS1_S1_S1_S1_S1_Pfllllllllllll15HIP_vector_typeIjLj3EES4_fi
	.p2align	8
	.type	_Z20gated_delta_net_cudaILi16ELb1ELb0EEvPKfS1_S1_S1_S1_S1_Pfllllllllllll15HIP_vector_typeIjLj3EES4_fi,@function
_Z20gated_delta_net_cudaILi16ELb1ELb0EEvPKfS1_S1_S1_S1_S1_Pfllllllllllll15HIP_vector_typeIjLj3EES4_fi: ; @_Z20gated_delta_net_cudaILi16ELb1ELb0EEvPKfS1_S1_S1_S1_S1_Pfllllllllllll15HIP_vector_typeIjLj3EES4_fi
; %bb.0:
	s_clause 0x1
	s_load_dword s0, s[4:5], 0xc4
	s_load_dwordx16 s[12:27], s[4:5], 0x0
	s_mov_b32 s1, 0
	v_lshlrev_b32_e32 v5, 2, v0
	s_load_dwordx16 s[36:51], s[4:5], 0x40
	v_mov_b32_e32 v9, 0
	s_waitcnt lgkmcnt(0)
	s_lshr_b32 s0, s0, 16
	s_mul_hi_u32 s2, s26, s7
	v_mad_u64_u32 v[3:4], null, s8, s0, v[1:2]
	s_mul_i32 s0, s27, s7
	s_mul_i32 s28, s26, s7
	s_add_i32 s29, s2, s0
	s_lshl_b32 s0, s6, 8
	s_lshl_b64 s[2:3], s[28:29], 10
	s_add_u32 s2, s22, s2
	v_lshlrev_b32_e32 v1, 4, v3
	s_addc_u32 s3, s23, s3
	s_lshl_b64 s[0:1], s[0:1], 2
	s_add_u32 s0, s2, s0
	v_ashrrev_i32_e32 v2, 31, v1
	s_addc_u32 s1, s3, s1
	v_lshlrev_b64 v[6:7], 2, v[1:2]
	v_add_co_u32 v2, vcc_lo, s0, v6
	v_add_co_ci_u32_e64 v4, null, s1, v7, vcc_lo
	v_cmp_lt_i64_e64 s0, s[36:37], 1
	v_add_co_u32 v6, vcc_lo, v2, v5
	v_add_co_ci_u32_e64 v7, null, 0, v4, vcc_lo
	s_and_b32 vcc_lo, exec_lo, s0
	global_load_dword v8, v[6:7], off
	s_cbranch_vccnz .LBB4_5
; %bb.1:
	s_clause 0x4
	s_load_dwordx4 s[8:11], s[4:5], 0x98
	s_load_dwordx4 s[0:3], s[4:5], 0x80
	s_load_dwordx2 s[34:35], s[4:5], 0x90
	s_load_dword s31, s[4:5], 0xa8
	s_load_dword s30, s[4:5], 0xb0
	v_mbcnt_lo_u32_b32 v2, -1, 0
	s_mul_i32 s5, s28, s37
	s_mul_hi_u32 s22, s28, s36
	s_mul_i32 s23, s29, s36
	s_add_i32 s5, s22, s5
	v_and_b32_e32 v4, 16, v2
	v_xor_b32_e32 v6, 8, v2
	s_mul_i32 s33, s28, s36
	s_add_i32 s5, s5, s23
	s_add_u32 s22, s33, s6
	v_add_nc_u32_e32 v4, 16, v4
	s_addc_u32 s23, s5, 0
	v_xor_b32_e32 v7, 4, v2
	s_mul_i32 s51, s51, s7
	s_mul_hi_u32 s52, s50, s7
	s_waitcnt lgkmcnt(0)
	s_mul_hi_u32 s8, s8, s6
	v_cmp_lt_i32_e32 vcc_lo, v6, v4
	s_add_i32 s8, s6, s8
	s_mul_hi_u32 s11, s11, s7
	s_lshr_b32 s8, s8, s9
	s_mul_i32 s4, s50, s7
	s_add_i32 s5, s52, s51
	s_add_i32 s9, s7, s11
	s_mul_i32 s8, s8, s10
	s_lshl_b64 s[4:5], s[4:5], 2
	v_xor_b32_e32 v10, 2, v2
	v_cndmask_b32_e32 v6, v2, v6, vcc_lo
	v_cmp_lt_i32_e32 vcc_lo, v7, v4
	s_mul_i32 s47, s47, s6
	s_mul_hi_u32 s50, s46, s6
	s_lshl_b64 s[22:23], s[22:23], 6
	s_lshr_b32 s9, s9, s31
	s_sub_i32 s8, s6, s8
	s_add_u32 s10, s16, s4
	s_addc_u32 s11, s17, s5
	s_add_i32 s5, s50, s47
	s_mul_i32 s4, s46, s6
	v_xor_b32_e32 v11, 1, v2
	s_lshl_b64 s[4:5], s[4:5], 2
	v_cndmask_b32_e32 v7, v2, v7, vcc_lo
	v_cmp_lt_i32_e32 vcc_lo, v10, v4
	s_add_u32 s10, s10, s4
	s_addc_u32 s11, s11, s5
	s_mul_i32 s4, s35, s7
	s_mul_hi_u32 s5, s34, s7
	s_mul_i32 s1, s1, s6
	s_add_i32 s17, s5, s4
	s_mul_hi_u32 s4, s0, s6
	v_cndmask_b32_e32 v12, v2, v10, vcc_lo
	v_cmp_lt_i32_e32 vcc_lo, v11, v4
	v_ashrrev_i32_e32 v4, 31, v3
	s_add_i32 s31, s4, s1
	s_mul_i32 s16, s0, s6
	s_mul_i32 s0, s45, s9
	s_mul_hi_u32 s1, s44, s9
	s_mul_i32 s4, s41, s8
	s_mul_hi_u32 s5, s40, s8
	s_add_i32 s1, s1, s0
	s_mul_i32 s0, s44, s9
	s_add_i32 s5, s5, s4
	s_mul_i32 s4, s40, s8
	v_cndmask_b32_e32 v2, v2, v11, vcc_lo
	v_lshlrev_b32_e32 v10, 2, v6
	v_lshlrev_b32_e32 v11, 2, v7
	v_lshlrev_b64 v[6:7], 2, v[3:4]
	s_lshl_b64 s[0:1], s[0:1], 2
	s_lshl_b64 s[4:5], s[4:5], 2
	s_mul_i32 s7, s34, s7
	s_add_u32 s33, s0, s4
	s_addc_u32 s1, s1, s5
	s_lshl_b64 s[4:5], s[42:43], 2
	s_lshl_b64 s[8:9], s[48:49], 2
	s_add_u32 s16, s7, s16
	v_lshlrev_b32_e32 v13, 2, v2
	v_add_co_u32 v2, vcc_lo, s10, v6
	s_addc_u32 s17, s17, s31
	v_add_co_ci_u32_e64 v3, null, s11, v7, vcc_lo
	s_lshl_b64 s[10:11], s[16:17], 2
	v_add_co_u32 v14, s7, s33, v5
	s_add_u32 s10, s20, s10
	s_addc_u32 s11, s21, s11
	s_lshl_b64 s[20:21], s[16:17], 6
	s_lshl_b64 s[16:17], s[2:3], 2
	v_add_co_ci_u32_e64 v15, null, s1, 0, s7
	s_add_u32 s1, s18, s20
	s_addc_u32 s7, s19, s21
	v_add_co_u32 v4, s1, s1, v5
	s_lshl_b64 s[2:3], s[2:3], 6
	v_add_co_ci_u32_e64 v5, null, s7, 0, s1
	s_add_u32 s1, s24, s22
	s_addc_u32 s7, s25, s23
	v_add_co_u32 v6, vcc_lo, s1, v6
	v_lshlrev_b32_e32 v12, 2, v12
	v_cmp_eq_u32_e64 s0, 0, v0
	v_add_co_ci_u32_e64 v7, null, s7, v7, vcc_lo
	s_lshl_b64 s[18:19], s[26:27], 6
	s_mov_b64 s[20:21], 0
	s_branch .LBB4_3
.LBB4_2:                                ;   in Loop: Header=BB4_3 Depth=1
	s_or_b32 exec_lo, exec_lo, s1
	v_add_co_u32 v14, vcc_lo, v14, s4
	s_add_u32 s20, s20, 1
	v_add_co_ci_u32_e64 v15, null, s5, v15, vcc_lo
	v_add_co_u32 v2, vcc_lo, v2, s8
	s_addc_u32 s21, s21, 0
	v_add_co_ci_u32_e64 v3, null, s9, v3, vcc_lo
	v_add_co_u32 v4, vcc_lo, v4, s2
	v_cmp_le_i64_e64 s1, s[36:37], s[20:21]
	v_add_co_ci_u32_e64 v5, null, s3, v5, vcc_lo
	v_add_co_u32 v6, vcc_lo, v6, s18
	v_add_co_ci_u32_e64 v7, null, s19, v7, vcc_lo
	s_add_u32 s10, s10, s16
	s_addc_u32 s11, s11, s17
	s_and_b32 vcc_lo, exec_lo, s1
	s_cbranch_vccnz .LBB4_5
.LBB4_3:                                ; =>This Inner Loop Header: Depth=1
	global_load_dword v18, v[4:5], off
	v_add_co_u32 v16, vcc_lo, s14, v14
	s_waitcnt lgkmcnt(0)
	v_add_co_ci_u32_e64 v17, null, s15, v15, vcc_lo
	global_load_dword v19, v[16:17], off
	global_load_dword v20, v[2:3], off
	global_load_dword v21, v9, s[10:11]
	v_add_co_u32 v16, vcc_lo, s12, v14
	v_add_co_ci_u32_e64 v17, null, s13, v15, vcc_lo
	global_load_dword v16, v[16:17], off
	s_waitcnt vmcnt(4)
	v_mul_f32_e32 v17, 0x3fb8aa3b, v18
	v_cmp_ngt_f32_e32 vcc_lo, 0xc2ce8ed0, v18
	v_rndne_f32_e32 v22, v17
	v_fma_f32 v23, 0x3fb8aa3b, v18, -v17
	v_sub_f32_e32 v17, v17, v22
	v_fmac_f32_e32 v23, 0x32a5705f, v18
	v_cvt_i32_f32_e32 v22, v22
	v_add_f32_e32 v17, v17, v23
	v_exp_f32_e32 v17, v17
	v_ldexp_f32 v17, v17, v22
	v_cndmask_b32_e32 v17, 0, v17, vcc_lo
	v_cmp_nlt_f32_e32 vcc_lo, 0x42b17218, v18
	v_cndmask_b32_e32 v17, 0x7f800000, v17, vcc_lo
	v_mul_f32_e32 v8, v8, v17
	s_waitcnt vmcnt(3)
	v_fma_f32 v17, v19, v8, 0
	ds_bpermute_b32 v18, v10, v17
	s_waitcnt lgkmcnt(0)
	v_add_f32_e32 v17, v17, v18
	ds_bpermute_b32 v18, v11, v17
	s_waitcnt lgkmcnt(0)
	v_add_f32_e32 v17, v17, v18
	;; [unrolled: 3-line block ×4, first 2 shown]
	s_waitcnt vmcnt(2)
	v_sub_f32_e32 v17, v20, v17
	s_waitcnt vmcnt(1)
	v_mul_f32_e32 v17, v21, v17
	v_fmac_f32_e32 v8, v19, v17
	s_waitcnt vmcnt(0)
	v_fma_f32 v16, v16, v8, 0
	ds_bpermute_b32 v17, v10, v16
	s_waitcnt lgkmcnt(0)
	v_add_f32_e32 v16, v16, v17
	ds_bpermute_b32 v17, v11, v16
	s_waitcnt lgkmcnt(0)
	v_add_f32_e32 v16, v16, v17
	;; [unrolled: 3-line block ×3, first 2 shown]
	ds_bpermute_b32 v17, v13, v16
	s_and_saveexec_b32 s1, s0
	s_cbranch_execz .LBB4_2
; %bb.4:                                ;   in Loop: Header=BB4_3 Depth=1
	s_waitcnt lgkmcnt(0)
	v_add_f32_e32 v16, v16, v17
	v_mul_f32_e32 v16, s30, v16
	global_store_dword v[6:7], v16, off
	s_branch .LBB4_2
.LBB4_5:
	s_mul_i32 s0, s26, s37
	s_mul_hi_u32 s1, s26, s36
	s_mul_i32 s2, s26, s36
	s_add_i32 s0, s1, s0
	s_mul_i32 s1, s27, s36
	s_mul_i32 s3, s2, s39
	s_mul_hi_u32 s4, s2, s38
	s_add_i32 s0, s0, s1
	v_add_nc_u32_e32 v0, v1, v0
	s_add_i32 s1, s4, s3
	s_mul_i32 s0, s0, s38
	s_add_i32 s1, s1, s0
	s_mul_i32 s0, s2, s38
	v_ashrrev_i32_e32 v1, 31, v0
	s_lshl_b64 s[0:1], s[0:1], 6
	s_add_u32 s2, s24, s0
	s_addc_u32 s3, s25, s1
	s_add_u32 s0, s28, s6
	s_addc_u32 s1, s29, 0
	v_lshlrev_b64 v[0:1], 2, v[0:1]
	s_lshl_b64 s[0:1], s[0:1], 10
	s_add_u32 s0, s2, s0
	s_addc_u32 s1, s3, s1
	v_add_co_u32 v0, vcc_lo, s0, v0
	v_add_co_ci_u32_e64 v1, null, s1, v1, vcc_lo
	s_waitcnt vmcnt(0)
	global_store_dword v[0:1], v8, off
	s_endpgm
	.section	.rodata,"a",@progbits
	.p2align	6, 0x0
	.amdhsa_kernel _Z20gated_delta_net_cudaILi16ELb1ELb0EEvPKfS1_S1_S1_S1_S1_Pfllllllllllll15HIP_vector_typeIjLj3EES4_fi
		.amdhsa_group_segment_fixed_size 0
		.amdhsa_private_segment_fixed_size 0
		.amdhsa_kernarg_size 440
		.amdhsa_user_sgpr_count 6
		.amdhsa_user_sgpr_private_segment_buffer 1
		.amdhsa_user_sgpr_dispatch_ptr 0
		.amdhsa_user_sgpr_queue_ptr 0
		.amdhsa_user_sgpr_kernarg_segment_ptr 1
		.amdhsa_user_sgpr_dispatch_id 0
		.amdhsa_user_sgpr_flat_scratch_init 0
		.amdhsa_user_sgpr_private_segment_size 0
		.amdhsa_wavefront_size32 1
		.amdhsa_uses_dynamic_stack 0
		.amdhsa_system_sgpr_private_segment_wavefront_offset 0
		.amdhsa_system_sgpr_workgroup_id_x 1
		.amdhsa_system_sgpr_workgroup_id_y 1
		.amdhsa_system_sgpr_workgroup_id_z 1
		.amdhsa_system_sgpr_workgroup_info 0
		.amdhsa_system_vgpr_workitem_id 1
		.amdhsa_next_free_vgpr 24
		.amdhsa_next_free_sgpr 53
		.amdhsa_reserve_vcc 1
		.amdhsa_reserve_flat_scratch 0
		.amdhsa_float_round_mode_32 0
		.amdhsa_float_round_mode_16_64 0
		.amdhsa_float_denorm_mode_32 3
		.amdhsa_float_denorm_mode_16_64 3
		.amdhsa_dx10_clamp 1
		.amdhsa_ieee_mode 1
		.amdhsa_fp16_overflow 0
		.amdhsa_workgroup_processor_mode 1
		.amdhsa_memory_ordered 1
		.amdhsa_forward_progress 1
		.amdhsa_shared_vgpr_count 0
		.amdhsa_exception_fp_ieee_invalid_op 0
		.amdhsa_exception_fp_denorm_src 0
		.amdhsa_exception_fp_ieee_div_zero 0
		.amdhsa_exception_fp_ieee_overflow 0
		.amdhsa_exception_fp_ieee_underflow 0
		.amdhsa_exception_fp_ieee_inexact 0
		.amdhsa_exception_int_div_zero 0
	.end_amdhsa_kernel
	.section	.text._Z20gated_delta_net_cudaILi16ELb1ELb0EEvPKfS1_S1_S1_S1_S1_Pfllllllllllll15HIP_vector_typeIjLj3EES4_fi,"axG",@progbits,_Z20gated_delta_net_cudaILi16ELb1ELb0EEvPKfS1_S1_S1_S1_S1_Pfllllllllllll15HIP_vector_typeIjLj3EES4_fi,comdat
.Lfunc_end4:
	.size	_Z20gated_delta_net_cudaILi16ELb1ELb0EEvPKfS1_S1_S1_S1_S1_Pfllllllllllll15HIP_vector_typeIjLj3EES4_fi, .Lfunc_end4-_Z20gated_delta_net_cudaILi16ELb1ELb0EEvPKfS1_S1_S1_S1_S1_Pfllllllllllll15HIP_vector_typeIjLj3EES4_fi
                                        ; -- End function
	.set _Z20gated_delta_net_cudaILi16ELb1ELb0EEvPKfS1_S1_S1_S1_S1_Pfllllllllllll15HIP_vector_typeIjLj3EES4_fi.num_vgpr, 24
	.set _Z20gated_delta_net_cudaILi16ELb1ELb0EEvPKfS1_S1_S1_S1_S1_Pfllllllllllll15HIP_vector_typeIjLj3EES4_fi.num_agpr, 0
	.set _Z20gated_delta_net_cudaILi16ELb1ELb0EEvPKfS1_S1_S1_S1_S1_Pfllllllllllll15HIP_vector_typeIjLj3EES4_fi.numbered_sgpr, 53
	.set _Z20gated_delta_net_cudaILi16ELb1ELb0EEvPKfS1_S1_S1_S1_S1_Pfllllllllllll15HIP_vector_typeIjLj3EES4_fi.num_named_barrier, 0
	.set _Z20gated_delta_net_cudaILi16ELb1ELb0EEvPKfS1_S1_S1_S1_S1_Pfllllllllllll15HIP_vector_typeIjLj3EES4_fi.private_seg_size, 0
	.set _Z20gated_delta_net_cudaILi16ELb1ELb0EEvPKfS1_S1_S1_S1_S1_Pfllllllllllll15HIP_vector_typeIjLj3EES4_fi.uses_vcc, 1
	.set _Z20gated_delta_net_cudaILi16ELb1ELb0EEvPKfS1_S1_S1_S1_S1_Pfllllllllllll15HIP_vector_typeIjLj3EES4_fi.uses_flat_scratch, 0
	.set _Z20gated_delta_net_cudaILi16ELb1ELb0EEvPKfS1_S1_S1_S1_S1_Pfllllllllllll15HIP_vector_typeIjLj3EES4_fi.has_dyn_sized_stack, 0
	.set _Z20gated_delta_net_cudaILi16ELb1ELb0EEvPKfS1_S1_S1_S1_S1_Pfllllllllllll15HIP_vector_typeIjLj3EES4_fi.has_recursion, 0
	.set _Z20gated_delta_net_cudaILi16ELb1ELb0EEvPKfS1_S1_S1_S1_S1_Pfllllllllllll15HIP_vector_typeIjLj3EES4_fi.has_indirect_call, 0
	.section	.AMDGPU.csdata,"",@progbits
; Kernel info:
; codeLenInByte = 1248
; TotalNumSgprs: 55
; NumVgprs: 24
; ScratchSize: 0
; MemoryBound: 0
; FloatMode: 240
; IeeeMode: 1
; LDSByteSize: 0 bytes/workgroup (compile time only)
; SGPRBlocks: 0
; VGPRBlocks: 2
; NumSGPRsForWavesPerEU: 55
; NumVGPRsForWavesPerEU: 24
; Occupancy: 16
; WaveLimiterHint : 0
; COMPUTE_PGM_RSRC2:SCRATCH_EN: 0
; COMPUTE_PGM_RSRC2:USER_SGPR: 6
; COMPUTE_PGM_RSRC2:TRAP_HANDLER: 0
; COMPUTE_PGM_RSRC2:TGID_X_EN: 1
; COMPUTE_PGM_RSRC2:TGID_Y_EN: 1
; COMPUTE_PGM_RSRC2:TGID_Z_EN: 1
; COMPUTE_PGM_RSRC2:TIDIG_COMP_CNT: 1
	.section	.text._Z20gated_delta_net_cudaILi32ELb1ELb0EEvPKfS1_S1_S1_S1_S1_Pfllllllllllll15HIP_vector_typeIjLj3EES4_fi,"axG",@progbits,_Z20gated_delta_net_cudaILi32ELb1ELb0EEvPKfS1_S1_S1_S1_S1_Pfllllllllllll15HIP_vector_typeIjLj3EES4_fi,comdat
	.protected	_Z20gated_delta_net_cudaILi32ELb1ELb0EEvPKfS1_S1_S1_S1_S1_Pfllllllllllll15HIP_vector_typeIjLj3EES4_fi ; -- Begin function _Z20gated_delta_net_cudaILi32ELb1ELb0EEvPKfS1_S1_S1_S1_S1_Pfllllllllllll15HIP_vector_typeIjLj3EES4_fi
	.globl	_Z20gated_delta_net_cudaILi32ELb1ELb0EEvPKfS1_S1_S1_S1_S1_Pfllllllllllll15HIP_vector_typeIjLj3EES4_fi
	.p2align	8
	.type	_Z20gated_delta_net_cudaILi32ELb1ELb0EEvPKfS1_S1_S1_S1_S1_Pfllllllllllll15HIP_vector_typeIjLj3EES4_fi,@function
_Z20gated_delta_net_cudaILi32ELb1ELb0EEvPKfS1_S1_S1_S1_S1_Pfllllllllllll15HIP_vector_typeIjLj3EES4_fi: ; @_Z20gated_delta_net_cudaILi32ELb1ELb0EEvPKfS1_S1_S1_S1_S1_Pfllllllllllll15HIP_vector_typeIjLj3EES4_fi
; %bb.0:
	s_clause 0x1
	s_load_dword s0, s[4:5], 0xc4
	s_load_dwordx16 s[12:27], s[4:5], 0x0
	s_mov_b32 s1, 0
	v_lshlrev_b32_e32 v5, 2, v0
	s_load_dwordx16 s[36:51], s[4:5], 0x40
	v_mov_b32_e32 v9, 0
	s_waitcnt lgkmcnt(0)
	s_lshr_b32 s0, s0, 16
	s_mul_hi_u32 s2, s26, s7
	v_mad_u64_u32 v[3:4], null, s8, s0, v[1:2]
	s_mul_i32 s0, s27, s7
	s_mul_i32 s28, s26, s7
	s_add_i32 s29, s2, s0
	s_lshl_b32 s0, s6, 10
	s_lshl_b64 s[2:3], s[28:29], 12
	s_add_u32 s2, s22, s2
	v_lshlrev_b32_e32 v1, 5, v3
	s_addc_u32 s3, s23, s3
	s_lshl_b64 s[0:1], s[0:1], 2
	s_add_u32 s0, s2, s0
	v_ashrrev_i32_e32 v2, 31, v1
	s_addc_u32 s1, s3, s1
	v_lshlrev_b64 v[6:7], 2, v[1:2]
	v_add_co_u32 v2, vcc_lo, s0, v6
	v_add_co_ci_u32_e64 v4, null, s1, v7, vcc_lo
	v_cmp_lt_i64_e64 s0, s[36:37], 1
	v_add_co_u32 v6, vcc_lo, v2, v5
	v_add_co_ci_u32_e64 v7, null, 0, v4, vcc_lo
	s_and_b32 vcc_lo, exec_lo, s0
	global_load_dword v8, v[6:7], off
	s_cbranch_vccnz .LBB5_5
; %bb.1:
	v_mbcnt_lo_u32_b32 v2, -1, 0
	s_clause 0x4
	s_load_dwordx4 s[8:11], s[4:5], 0x98
	s_load_dwordx4 s[0:3], s[4:5], 0x80
	s_load_dwordx2 s[34:35], s[4:5], 0x90
	s_load_dword s31, s[4:5], 0xa8
	s_load_dword s30, s[4:5], 0xb0
	s_mul_i32 s5, s28, s37
	s_mul_hi_u32 s22, s28, s36
	s_mul_i32 s23, s29, s36
	v_xor_b32_e32 v4, 16, v2
	v_xor_b32_e32 v6, 8, v2
	s_add_i32 s5, s22, s5
	s_mul_i32 s33, s28, s36
	s_add_i32 s5, s5, s23
	v_cmp_gt_i32_e32 vcc_lo, 32, v4
	s_add_u32 s22, s33, s6
	s_addc_u32 s23, s5, 0
	s_mul_i32 s51, s51, s7
	s_mul_hi_u32 s52, s50, s7
	v_cndmask_b32_e32 v4, v2, v4, vcc_lo
	v_cmp_gt_i32_e32 vcc_lo, 32, v6
	s_waitcnt lgkmcnt(0)
	s_mul_hi_u32 s8, s8, s6
	s_mul_hi_u32 s11, s11, s7
	s_add_i32 s8, s6, s8
	v_lshlrev_b32_e32 v10, 2, v4
	v_xor_b32_e32 v4, 4, v2
	s_lshr_b32 s8, s8, s9
	s_mul_i32 s4, s50, s7
	s_add_i32 s5, s52, s51
	s_add_i32 s9, s7, s11
	s_mul_i32 s8, s8, s10
	v_xor_b32_e32 v7, 2, v2
	v_cndmask_b32_e32 v6, v2, v6, vcc_lo
	v_cmp_gt_i32_e32 vcc_lo, 32, v4
	s_lshl_b64 s[4:5], s[4:5], 2
	s_mul_i32 s47, s47, s6
	s_mul_hi_u32 s50, s46, s6
	s_lshl_b64 s[22:23], s[22:23], 7
	s_lshr_b32 s9, s9, s31
	s_sub_i32 s8, s6, s8
	s_add_u32 s10, s16, s4
	s_addc_u32 s11, s17, s5
	s_add_i32 s5, s50, s47
	s_mul_i32 s4, s46, s6
	v_xor_b32_e32 v11, 1, v2
	v_cndmask_b32_e32 v4, v2, v4, vcc_lo
	v_cmp_gt_i32_e32 vcc_lo, 32, v7
	s_lshl_b64 s[4:5], s[4:5], 2
	s_mul_hi_u32 s16, s34, s7
	s_add_u32 s10, s10, s4
	s_mul_i32 s4, s35, s7
	s_addc_u32 s11, s11, s5
	s_add_i32 s17, s16, s4
	s_mul_i32 s1, s1, s6
	s_mul_hi_u32 s4, s0, s6
	v_cndmask_b32_e32 v7, v2, v7, vcc_lo
	v_cmp_gt_i32_e32 vcc_lo, 32, v11
	v_lshlrev_b32_e32 v12, 2, v4
	v_ashrrev_i32_e32 v4, 31, v3
	s_add_i32 s31, s4, s1
	s_mul_i32 s16, s0, s6
	s_mul_i32 s0, s45, s9
	s_mul_hi_u32 s1, s44, s9
	s_mul_i32 s4, s41, s8
	s_mul_hi_u32 s5, s40, s8
	s_add_i32 s1, s1, s0
	s_mul_i32 s0, s44, s9
	s_add_i32 s5, s5, s4
	s_mul_i32 s4, s40, s8
	v_cndmask_b32_e32 v2, v2, v11, vcc_lo
	v_lshlrev_b32_e32 v11, 2, v6
	v_lshlrev_b32_e32 v13, 2, v7
	v_lshlrev_b64 v[6:7], 2, v[3:4]
	s_lshl_b64 s[0:1], s[0:1], 2
	s_lshl_b64 s[4:5], s[4:5], 2
	s_mul_i32 s7, s34, s7
	s_add_u32 s33, s0, s4
	s_addc_u32 s1, s1, s5
	s_lshl_b64 s[4:5], s[42:43], 2
	s_lshl_b64 s[8:9], s[48:49], 2
	s_add_u32 s16, s7, s16
	v_lshlrev_b32_e32 v14, 2, v2
	v_add_co_u32 v2, vcc_lo, s10, v6
	s_addc_u32 s17, s17, s31
	v_add_co_ci_u32_e64 v3, null, s11, v7, vcc_lo
	s_lshl_b64 s[10:11], s[16:17], 2
	v_add_co_u32 v15, s7, s33, v5
	s_add_u32 s10, s20, s10
	s_addc_u32 s11, s21, s11
	s_lshl_b64 s[20:21], s[16:17], 7
	s_lshl_b64 s[16:17], s[2:3], 2
	v_add_co_ci_u32_e64 v16, null, s1, 0, s7
	s_add_u32 s1, s18, s20
	s_addc_u32 s7, s19, s21
	v_add_co_u32 v4, s1, s1, v5
	s_lshl_b64 s[2:3], s[2:3], 7
	v_add_co_ci_u32_e64 v5, null, s7, 0, s1
	s_add_u32 s1, s24, s22
	s_addc_u32 s7, s25, s23
	v_add_co_u32 v6, vcc_lo, s1, v6
	v_cmp_eq_u32_e64 s0, 0, v0
	v_add_co_ci_u32_e64 v7, null, s7, v7, vcc_lo
	s_lshl_b64 s[18:19], s[26:27], 7
	s_mov_b64 s[20:21], 0
	s_branch .LBB5_3
.LBB5_2:                                ;   in Loop: Header=BB5_3 Depth=1
	s_or_b32 exec_lo, exec_lo, s1
	v_add_co_u32 v15, vcc_lo, v15, s4
	s_add_u32 s20, s20, 1
	v_add_co_ci_u32_e64 v16, null, s5, v16, vcc_lo
	v_add_co_u32 v2, vcc_lo, v2, s8
	s_addc_u32 s21, s21, 0
	v_add_co_ci_u32_e64 v3, null, s9, v3, vcc_lo
	v_add_co_u32 v4, vcc_lo, v4, s2
	v_cmp_le_i64_e64 s1, s[36:37], s[20:21]
	v_add_co_ci_u32_e64 v5, null, s3, v5, vcc_lo
	v_add_co_u32 v6, vcc_lo, v6, s18
	v_add_co_ci_u32_e64 v7, null, s19, v7, vcc_lo
	s_add_u32 s10, s10, s16
	s_addc_u32 s11, s11, s17
	s_and_b32 vcc_lo, exec_lo, s1
	s_cbranch_vccnz .LBB5_5
.LBB5_3:                                ; =>This Inner Loop Header: Depth=1
	global_load_dword v19, v[4:5], off
	v_add_co_u32 v17, vcc_lo, s14, v15
	s_waitcnt lgkmcnt(0)
	v_add_co_ci_u32_e64 v18, null, s15, v16, vcc_lo
	global_load_dword v20, v[17:18], off
	global_load_dword v21, v[2:3], off
	global_load_dword v22, v9, s[10:11]
	v_add_co_u32 v17, vcc_lo, s12, v15
	v_add_co_ci_u32_e64 v18, null, s13, v16, vcc_lo
	global_load_dword v17, v[17:18], off
	s_waitcnt vmcnt(4)
	v_mul_f32_e32 v18, 0x3fb8aa3b, v19
	v_cmp_ngt_f32_e32 vcc_lo, 0xc2ce8ed0, v19
	v_rndne_f32_e32 v23, v18
	v_fma_f32 v24, 0x3fb8aa3b, v19, -v18
	v_sub_f32_e32 v18, v18, v23
	v_fmac_f32_e32 v24, 0x32a5705f, v19
	v_cvt_i32_f32_e32 v23, v23
	v_add_f32_e32 v18, v18, v24
	v_exp_f32_e32 v18, v18
	v_ldexp_f32 v18, v18, v23
	v_cndmask_b32_e32 v18, 0, v18, vcc_lo
	v_cmp_nlt_f32_e32 vcc_lo, 0x42b17218, v19
	v_cndmask_b32_e32 v18, 0x7f800000, v18, vcc_lo
	v_mul_f32_e32 v8, v8, v18
	s_waitcnt vmcnt(3)
	v_fma_f32 v18, v20, v8, 0
	ds_bpermute_b32 v19, v10, v18
	s_waitcnt lgkmcnt(0)
	v_add_f32_e32 v18, v18, v19
	ds_bpermute_b32 v19, v11, v18
	s_waitcnt lgkmcnt(0)
	v_add_f32_e32 v18, v18, v19
	;; [unrolled: 3-line block ×5, first 2 shown]
	s_waitcnt vmcnt(2)
	v_sub_f32_e32 v18, v21, v18
	s_waitcnt vmcnt(1)
	v_mul_f32_e32 v18, v22, v18
	v_fmac_f32_e32 v8, v20, v18
	s_waitcnt vmcnt(0)
	v_fma_f32 v17, v17, v8, 0
	ds_bpermute_b32 v18, v10, v17
	s_waitcnt lgkmcnt(0)
	v_add_f32_e32 v17, v17, v18
	ds_bpermute_b32 v18, v11, v17
	s_waitcnt lgkmcnt(0)
	v_add_f32_e32 v17, v17, v18
	;; [unrolled: 3-line block ×4, first 2 shown]
	ds_bpermute_b32 v18, v14, v17
	s_and_saveexec_b32 s1, s0
	s_cbranch_execz .LBB5_2
; %bb.4:                                ;   in Loop: Header=BB5_3 Depth=1
	s_waitcnt lgkmcnt(0)
	v_add_f32_e32 v17, v17, v18
	v_mul_f32_e32 v17, s30, v17
	global_store_dword v[6:7], v17, off
	s_branch .LBB5_2
.LBB5_5:
	s_mul_i32 s0, s26, s37
	s_mul_hi_u32 s1, s26, s36
	s_mul_i32 s2, s26, s36
	s_add_i32 s0, s1, s0
	s_mul_i32 s1, s27, s36
	s_mul_i32 s3, s2, s39
	s_mul_hi_u32 s4, s2, s38
	s_add_i32 s0, s0, s1
	v_add_nc_u32_e32 v0, v1, v0
	s_add_i32 s1, s4, s3
	s_mul_i32 s0, s0, s38
	s_add_i32 s1, s1, s0
	s_mul_i32 s0, s2, s38
	v_ashrrev_i32_e32 v1, 31, v0
	s_lshl_b64 s[0:1], s[0:1], 7
	s_add_u32 s2, s24, s0
	s_addc_u32 s3, s25, s1
	s_add_u32 s0, s28, s6
	s_addc_u32 s1, s29, 0
	v_lshlrev_b64 v[0:1], 2, v[0:1]
	s_lshl_b64 s[0:1], s[0:1], 12
	s_add_u32 s0, s2, s0
	s_addc_u32 s1, s3, s1
	v_add_co_u32 v0, vcc_lo, s0, v0
	v_add_co_ci_u32_e64 v1, null, s1, v1, vcc_lo
	s_waitcnt vmcnt(0)
	global_store_dword v[0:1], v8, off
	s_endpgm
	.section	.rodata,"a",@progbits
	.p2align	6, 0x0
	.amdhsa_kernel _Z20gated_delta_net_cudaILi32ELb1ELb0EEvPKfS1_S1_S1_S1_S1_Pfllllllllllll15HIP_vector_typeIjLj3EES4_fi
		.amdhsa_group_segment_fixed_size 0
		.amdhsa_private_segment_fixed_size 0
		.amdhsa_kernarg_size 440
		.amdhsa_user_sgpr_count 6
		.amdhsa_user_sgpr_private_segment_buffer 1
		.amdhsa_user_sgpr_dispatch_ptr 0
		.amdhsa_user_sgpr_queue_ptr 0
		.amdhsa_user_sgpr_kernarg_segment_ptr 1
		.amdhsa_user_sgpr_dispatch_id 0
		.amdhsa_user_sgpr_flat_scratch_init 0
		.amdhsa_user_sgpr_private_segment_size 0
		.amdhsa_wavefront_size32 1
		.amdhsa_uses_dynamic_stack 0
		.amdhsa_system_sgpr_private_segment_wavefront_offset 0
		.amdhsa_system_sgpr_workgroup_id_x 1
		.amdhsa_system_sgpr_workgroup_id_y 1
		.amdhsa_system_sgpr_workgroup_id_z 1
		.amdhsa_system_sgpr_workgroup_info 0
		.amdhsa_system_vgpr_workitem_id 1
		.amdhsa_next_free_vgpr 25
		.amdhsa_next_free_sgpr 53
		.amdhsa_reserve_vcc 1
		.amdhsa_reserve_flat_scratch 0
		.amdhsa_float_round_mode_32 0
		.amdhsa_float_round_mode_16_64 0
		.amdhsa_float_denorm_mode_32 3
		.amdhsa_float_denorm_mode_16_64 3
		.amdhsa_dx10_clamp 1
		.amdhsa_ieee_mode 1
		.amdhsa_fp16_overflow 0
		.amdhsa_workgroup_processor_mode 1
		.amdhsa_memory_ordered 1
		.amdhsa_forward_progress 1
		.amdhsa_shared_vgpr_count 0
		.amdhsa_exception_fp_ieee_invalid_op 0
		.amdhsa_exception_fp_denorm_src 0
		.amdhsa_exception_fp_ieee_div_zero 0
		.amdhsa_exception_fp_ieee_overflow 0
		.amdhsa_exception_fp_ieee_underflow 0
		.amdhsa_exception_fp_ieee_inexact 0
		.amdhsa_exception_int_div_zero 0
	.end_amdhsa_kernel
	.section	.text._Z20gated_delta_net_cudaILi32ELb1ELb0EEvPKfS1_S1_S1_S1_S1_Pfllllllllllll15HIP_vector_typeIjLj3EES4_fi,"axG",@progbits,_Z20gated_delta_net_cudaILi32ELb1ELb0EEvPKfS1_S1_S1_S1_S1_Pfllllllllllll15HIP_vector_typeIjLj3EES4_fi,comdat
.Lfunc_end5:
	.size	_Z20gated_delta_net_cudaILi32ELb1ELb0EEvPKfS1_S1_S1_S1_S1_Pfllllllllllll15HIP_vector_typeIjLj3EES4_fi, .Lfunc_end5-_Z20gated_delta_net_cudaILi32ELb1ELb0EEvPKfS1_S1_S1_S1_S1_Pfllllllllllll15HIP_vector_typeIjLj3EES4_fi
                                        ; -- End function
	.set _Z20gated_delta_net_cudaILi32ELb1ELb0EEvPKfS1_S1_S1_S1_S1_Pfllllllllllll15HIP_vector_typeIjLj3EES4_fi.num_vgpr, 25
	.set _Z20gated_delta_net_cudaILi32ELb1ELb0EEvPKfS1_S1_S1_S1_S1_Pfllllllllllll15HIP_vector_typeIjLj3EES4_fi.num_agpr, 0
	.set _Z20gated_delta_net_cudaILi32ELb1ELb0EEvPKfS1_S1_S1_S1_S1_Pfllllllllllll15HIP_vector_typeIjLj3EES4_fi.numbered_sgpr, 53
	.set _Z20gated_delta_net_cudaILi32ELb1ELb0EEvPKfS1_S1_S1_S1_S1_Pfllllllllllll15HIP_vector_typeIjLj3EES4_fi.num_named_barrier, 0
	.set _Z20gated_delta_net_cudaILi32ELb1ELb0EEvPKfS1_S1_S1_S1_S1_Pfllllllllllll15HIP_vector_typeIjLj3EES4_fi.private_seg_size, 0
	.set _Z20gated_delta_net_cudaILi32ELb1ELb0EEvPKfS1_S1_S1_S1_S1_Pfllllllllllll15HIP_vector_typeIjLj3EES4_fi.uses_vcc, 1
	.set _Z20gated_delta_net_cudaILi32ELb1ELb0EEvPKfS1_S1_S1_S1_S1_Pfllllllllllll15HIP_vector_typeIjLj3EES4_fi.uses_flat_scratch, 0
	.set _Z20gated_delta_net_cudaILi32ELb1ELb0EEvPKfS1_S1_S1_S1_S1_Pfllllllllllll15HIP_vector_typeIjLj3EES4_fi.has_dyn_sized_stack, 0
	.set _Z20gated_delta_net_cudaILi32ELb1ELb0EEvPKfS1_S1_S1_S1_S1_Pfllllllllllll15HIP_vector_typeIjLj3EES4_fi.has_recursion, 0
	.set _Z20gated_delta_net_cudaILi32ELb1ELb0EEvPKfS1_S1_S1_S1_S1_Pfllllllllllll15HIP_vector_typeIjLj3EES4_fi.has_indirect_call, 0
	.section	.AMDGPU.csdata,"",@progbits
; Kernel info:
; codeLenInByte = 1288
; TotalNumSgprs: 55
; NumVgprs: 25
; ScratchSize: 0
; MemoryBound: 0
; FloatMode: 240
; IeeeMode: 1
; LDSByteSize: 0 bytes/workgroup (compile time only)
; SGPRBlocks: 0
; VGPRBlocks: 3
; NumSGPRsForWavesPerEU: 55
; NumVGPRsForWavesPerEU: 25
; Occupancy: 16
; WaveLimiterHint : 0
; COMPUTE_PGM_RSRC2:SCRATCH_EN: 0
; COMPUTE_PGM_RSRC2:USER_SGPR: 6
; COMPUTE_PGM_RSRC2:TRAP_HANDLER: 0
; COMPUTE_PGM_RSRC2:TGID_X_EN: 1
; COMPUTE_PGM_RSRC2:TGID_Y_EN: 1
; COMPUTE_PGM_RSRC2:TGID_Z_EN: 1
; COMPUTE_PGM_RSRC2:TIDIG_COMP_CNT: 1
	.section	.text._Z20gated_delta_net_cudaILi64ELb1ELb0EEvPKfS1_S1_S1_S1_S1_Pfllllllllllll15HIP_vector_typeIjLj3EES4_fi,"axG",@progbits,_Z20gated_delta_net_cudaILi64ELb1ELb0EEvPKfS1_S1_S1_S1_S1_Pfllllllllllll15HIP_vector_typeIjLj3EES4_fi,comdat
	.protected	_Z20gated_delta_net_cudaILi64ELb1ELb0EEvPKfS1_S1_S1_S1_S1_Pfllllllllllll15HIP_vector_typeIjLj3EES4_fi ; -- Begin function _Z20gated_delta_net_cudaILi64ELb1ELb0EEvPKfS1_S1_S1_S1_S1_Pfllllllllllll15HIP_vector_typeIjLj3EES4_fi
	.globl	_Z20gated_delta_net_cudaILi64ELb1ELb0EEvPKfS1_S1_S1_S1_S1_Pfllllllllllll15HIP_vector_typeIjLj3EES4_fi
	.p2align	8
	.type	_Z20gated_delta_net_cudaILi64ELb1ELb0EEvPKfS1_S1_S1_S1_S1_Pfllllllllllll15HIP_vector_typeIjLj3EES4_fi,@function
_Z20gated_delta_net_cudaILi64ELb1ELb0EEvPKfS1_S1_S1_S1_S1_Pfllllllllllll15HIP_vector_typeIjLj3EES4_fi: ; @_Z20gated_delta_net_cudaILi64ELb1ELb0EEvPKfS1_S1_S1_S1_S1_Pfllllllllllll15HIP_vector_typeIjLj3EES4_fi
; %bb.0:
	s_clause 0x1
	s_load_dword s0, s[4:5], 0xc4
	s_load_dwordx16 s[12:27], s[4:5], 0x0
	s_mov_b32 s1, 0
	v_lshlrev_b32_e32 v6, 2, v0
	s_load_dwordx16 s[36:51], s[4:5], 0x40
	v_mov_b32_e32 v10, 0
	s_waitcnt lgkmcnt(0)
	s_lshr_b32 s0, s0, 16
	s_mul_hi_u32 s2, s26, s7
	v_mad_u64_u32 v[3:4], null, s8, s0, v[1:2]
	s_mul_i32 s0, s27, s7
	s_mul_i32 s28, s26, s7
	s_add_i32 s29, s2, s0
	s_lshl_b32 s0, s6, 12
	s_lshl_b64 s[2:3], s[28:29], 14
	s_add_u32 s2, s22, s2
	v_lshlrev_b32_e32 v1, 6, v3
	s_addc_u32 s3, s23, s3
	s_lshl_b64 s[0:1], s[0:1], 2
	s_add_u32 s0, s2, s0
	v_ashrrev_i32_e32 v2, 31, v1
	s_addc_u32 s1, s3, s1
	v_lshlrev_b64 v[4:5], 2, v[1:2]
	v_add_co_u32 v2, vcc_lo, s0, v4
	v_add_co_ci_u32_e64 v5, null, s1, v5, vcc_lo
	v_cmp_lt_i64_e64 s0, s[36:37], 1
	v_add_co_u32 v4, vcc_lo, v2, v6
	v_add_co_ci_u32_e64 v5, null, 0, v5, vcc_lo
	s_clause 0x1
	global_load_dword v8, v[4:5], off
	global_load_dword v9, v[4:5], off offset:128
	s_and_b32 vcc_lo, exec_lo, s0
	s_cbranch_vccnz .LBB6_5
; %bb.1:
	v_mbcnt_lo_u32_b32 v2, -1, 0
	s_clause 0x4
	s_load_dwordx4 s[8:11], s[4:5], 0x98
	s_load_dwordx4 s[0:3], s[4:5], 0x80
	s_load_dwordx2 s[30:31], s[4:5], 0x90
	s_load_dword s23, s[4:5], 0xa8
	s_load_dword s22, s[4:5], 0xb0
	s_mul_i32 s5, s28, s37
	s_mul_hi_u32 s33, s28, s36
	s_mul_i32 s34, s29, s36
	v_xor_b32_e32 v4, 16, v2
	v_xor_b32_e32 v5, 8, v2
	s_add_i32 s5, s33, s5
	s_mul_i32 s35, s28, s36
	s_add_i32 s5, s5, s34
	v_cmp_gt_i32_e32 vcc_lo, 32, v4
	s_add_u32 s34, s35, s6
	v_xor_b32_e32 v12, 1, v2
	s_addc_u32 s35, s5, 0
	s_mul_i32 s51, s51, s7
	v_cndmask_b32_e32 v4, v2, v4, vcc_lo
	v_cmp_gt_i32_e32 vcc_lo, 32, v5
	s_waitcnt lgkmcnt(0)
	s_mul_hi_u32 s8, s8, s6
	s_mul_hi_u32 s52, s50, s7
	s_add_i32 s8, s6, s8
	v_lshlrev_b32_e32 v11, 2, v4
	v_xor_b32_e32 v4, 4, v2
	v_cndmask_b32_e32 v7, v2, v5, vcc_lo
	v_xor_b32_e32 v5, 2, v2
	s_mul_hi_u32 s11, s11, s7
	s_lshr_b32 s8, s8, s9
	v_cmp_gt_i32_e32 vcc_lo, 32, v4
	s_mul_i32 s4, s50, s7
	s_add_i32 s5, s52, s51
	s_add_i32 s9, s7, s11
	s_mul_i32 s8, s8, s10
	v_cndmask_b32_e32 v13, v2, v4, vcc_lo
	v_cmp_gt_i32_e32 vcc_lo, 32, v5
	v_ashrrev_i32_e32 v4, 31, v3
	s_lshl_b64 s[4:5], s[4:5], 2
	s_mul_i32 s47, s47, s6
	s_mul_hi_u32 s33, s46, s6
	v_cndmask_b32_e32 v14, v2, v5, vcc_lo
	v_cmp_gt_i32_e32 vcc_lo, 32, v12
	s_lshl_b64 s[34:35], s[34:35], 8
	s_lshr_b32 s9, s9, s23
	s_sub_i32 s8, s6, s8
	s_add_u32 s10, s16, s4
	s_addc_u32 s11, s17, s5
	s_add_i32 s5, s33, s47
	s_mul_i32 s4, s46, s6
	v_lshlrev_b64 v[4:5], 2, v[3:4]
	v_cndmask_b32_e32 v2, v2, v12, vcc_lo
	s_lshl_b64 s[4:5], s[4:5], 2
	s_mul_hi_u32 s16, s30, s7
	s_add_u32 s4, s10, s4
	s_mul_i32 s10, s31, s7
	s_addc_u32 s5, s11, s5
	s_add_i32 s17, s16, s10
	s_mul_i32 s1, s1, s6
	s_mul_hi_u32 s10, s0, s6
	v_lshlrev_b32_e32 v15, 2, v2
	v_add_co_u32 v2, vcc_lo, s4, v4
	s_add_i32 s1, s10, s1
	v_add_co_ci_u32_e64 v3, null, s5, v5, vcc_lo
	s_mul_i32 s4, s45, s9
	s_mul_hi_u32 s5, s44, s9
	s_mul_i32 s10, s41, s8
	s_mul_hi_u32 s11, s40, s8
	s_add_u32 s23, s24, s34
	s_mul_i32 s7, s30, s7
	s_addc_u32 s30, s25, s35
	s_add_i32 s5, s5, s4
	s_mul_i32 s4, s44, s9
	s_add_i32 s9, s11, s10
	s_mul_i32 s8, s40, s8
	s_lshl_b64 s[10:11], s[4:5], 2
	s_lshl_b64 s[8:9], s[8:9], 2
	;; [unrolled: 1-line block ×3, first 2 shown]
	s_mul_i32 s16, s0, s6
	s_add_u32 s31, s10, s8
	s_addc_u32 s33, s11, s9
	s_lshl_b64 s[8:9], s[42:43], 2
	s_add_u32 s16, s7, s16
	s_addc_u32 s17, s17, s1
	v_lshlrev_b32_e32 v12, 2, v7
	s_lshl_b64 s[10:11], s[16:17], 8
	v_add_co_u32 v7, s1, s31, v6
	v_add_co_ci_u32_e64 v17, null, s33, 0, s1
	s_add_u32 s1, s18, s10
	s_addc_u32 s7, s19, s11
	v_add_co_u32 v6, s1, s1, v6
	v_add_co_u32 v4, vcc_lo, s23, v4
	v_add_co_ci_u32_e64 v18, null, s7, 0, s1
	v_add_co_ci_u32_e64 v5, null, s30, v5, vcc_lo
	v_add_co_u32 v16, vcc_lo, 0x80, v7
	v_add_co_ci_u32_e64 v17, null, 0, v17, vcc_lo
	v_add_co_u32 v6, vcc_lo, 0x80, v6
	v_lshlrev_b32_e32 v13, 2, v13
	v_lshlrev_b32_e32 v14, 2, v14
	v_cmp_eq_u32_e64 s0, 0, v0
	v_add_co_ci_u32_e64 v7, null, 0, v18, vcc_lo
	s_lshl_b64 s[18:19], s[16:17], 2
	s_lshl_b64 s[10:11], s[2:3], 8
	;; [unrolled: 1-line block ×3, first 2 shown]
	s_add_u32 s18, s20, s18
	s_addc_u32 s19, s21, s19
	s_lshl_b64 s[2:3], s[2:3], 2
	s_mov_b64 s[20:21], 0
	s_branch .LBB6_3
.LBB6_2:                                ;   in Loop: Header=BB6_3 Depth=1
	s_or_b32 exec_lo, exec_lo, s1
	v_add_co_u32 v4, vcc_lo, v4, s4
	s_add_u32 s20, s20, 1
	v_add_co_ci_u32_e64 v5, null, s5, v5, vcc_lo
	v_add_co_u32 v16, vcc_lo, v16, s8
	s_addc_u32 s21, s21, 0
	v_add_co_ci_u32_e64 v17, null, s9, v17, vcc_lo
	v_add_co_u32 v6, vcc_lo, v6, s10
	v_cmp_le_i64_e64 s1, s[36:37], s[20:21]
	v_add_co_ci_u32_e64 v7, null, s11, v7, vcc_lo
	v_add_co_u32 v2, vcc_lo, v2, s16
	v_add_co_ci_u32_e64 v3, null, s17, v3, vcc_lo
	s_add_u32 s18, s18, s2
	s_addc_u32 s19, s19, s3
	s_and_b32 vcc_lo, exec_lo, s1
	s_cbranch_vccnz .LBB6_5
.LBB6_3:                                ; =>This Inner Loop Header: Depth=1
	s_clause 0x1
	global_load_dword v20, v[6:7], off offset:-128
	global_load_dword v21, v[6:7], off
	v_add_co_u32 v18, vcc_lo, s14, v16
	s_waitcnt lgkmcnt(0)
	v_add_co_ci_u32_e64 v19, null, s15, v17, vcc_lo
	s_clause 0x1
	global_load_dword v22, v[18:19], off offset:-128
	global_load_dword v23, v[18:19], off
	global_load_dword v24, v[2:3], off
	global_load_dword v25, v10, s[18:19]
	v_add_co_u32 v18, vcc_lo, s12, v16
	v_add_co_ci_u32_e64 v19, null, s13, v17, vcc_lo
	s_clause 0x1
	global_load_dword v26, v[18:19], off offset:-128
	global_load_dword v18, v[18:19], off
	s_waitcnt vmcnt(7)
	v_mul_f32_e32 v19, 0x3fb8aa3b, v20
	s_waitcnt vmcnt(6)
	v_mul_f32_e32 v27, 0x3fb8aa3b, v21
	v_cmp_ngt_f32_e32 vcc_lo, 0xc2ce8ed0, v20
	v_rndne_f32_e32 v28, v19
	v_fma_f32 v29, 0x3fb8aa3b, v20, -v19
	v_rndne_f32_e32 v30, v27
	v_fma_f32 v31, 0x3fb8aa3b, v21, -v27
	v_sub_f32_e32 v19, v19, v28
	v_fmac_f32_e32 v29, 0x32a5705f, v20
	v_sub_f32_e32 v27, v27, v30
	v_fmac_f32_e32 v31, 0x32a5705f, v21
	v_cvt_i32_f32_e32 v28, v28
	v_add_f32_e32 v19, v19, v29
	v_cvt_i32_f32_e32 v29, v30
	v_add_f32_e32 v27, v27, v31
	v_exp_f32_e32 v19, v19
	v_exp_f32_e32 v27, v27
	v_ldexp_f32 v19, v19, v28
	v_ldexp_f32 v27, v27, v29
	v_cndmask_b32_e32 v19, 0, v19, vcc_lo
	v_cmp_ngt_f32_e32 vcc_lo, 0xc2ce8ed0, v21
	v_cndmask_b32_e32 v27, 0, v27, vcc_lo
	v_cmp_nlt_f32_e32 vcc_lo, 0x42b17218, v20
	v_cndmask_b32_e32 v19, 0x7f800000, v19, vcc_lo
	v_cmp_nlt_f32_e32 vcc_lo, 0x42b17218, v21
	v_mul_f32_e32 v8, v8, v19
	v_cndmask_b32_e32 v20, 0x7f800000, v27, vcc_lo
	s_waitcnt vmcnt(5)
	v_fma_f32 v19, v22, v8, 0
	v_mul_f32_e32 v9, v9, v20
	s_waitcnt vmcnt(4)
	v_fmac_f32_e32 v19, v23, v9
	ds_bpermute_b32 v20, v11, v19
	s_waitcnt lgkmcnt(0)
	v_add_f32_e32 v19, v19, v20
	ds_bpermute_b32 v20, v12, v19
	s_waitcnt lgkmcnt(0)
	v_add_f32_e32 v19, v19, v20
	;; [unrolled: 3-line block ×5, first 2 shown]
	s_waitcnt vmcnt(3)
	v_sub_f32_e32 v19, v24, v19
	s_waitcnt vmcnt(2)
	v_mul_f32_e32 v19, v25, v19
	v_fmac_f32_e32 v8, v19, v22
	v_fmac_f32_e32 v9, v19, v23
	s_waitcnt vmcnt(1)
	v_fma_f32 v20, v26, v8, 0
	s_waitcnt vmcnt(0)
	v_fmac_f32_e32 v20, v18, v9
	ds_bpermute_b32 v18, v11, v20
	s_waitcnt lgkmcnt(0)
	v_add_f32_e32 v18, v20, v18
	ds_bpermute_b32 v19, v12, v18
	s_waitcnt lgkmcnt(0)
	v_add_f32_e32 v18, v18, v19
	;; [unrolled: 3-line block ×4, first 2 shown]
	ds_bpermute_b32 v19, v15, v18
	s_and_saveexec_b32 s1, s0
	s_cbranch_execz .LBB6_2
; %bb.4:                                ;   in Loop: Header=BB6_3 Depth=1
	s_waitcnt lgkmcnt(0)
	v_add_f32_e32 v18, v18, v19
	v_mul_f32_e32 v18, s22, v18
	global_store_dword v[4:5], v18, off
	s_branch .LBB6_2
.LBB6_5:
	s_mul_i32 s0, s26, s37
	s_mul_hi_u32 s1, s26, s36
	s_mul_i32 s2, s26, s36
	s_add_i32 s0, s1, s0
	s_mul_i32 s1, s27, s36
	s_mul_i32 s3, s2, s39
	s_mul_hi_u32 s4, s2, s38
	s_add_i32 s0, s0, s1
	v_add_nc_u32_e32 v0, v1, v0
	s_add_i32 s1, s4, s3
	s_mul_i32 s0, s0, s38
	s_add_i32 s1, s1, s0
	s_mul_i32 s0, s2, s38
	v_ashrrev_i32_e32 v1, 31, v0
	s_lshl_b64 s[0:1], s[0:1], 8
	s_add_u32 s2, s24, s0
	s_addc_u32 s3, s25, s1
	s_add_u32 s0, s28, s6
	s_addc_u32 s1, s29, 0
	v_lshlrev_b64 v[0:1], 2, v[0:1]
	s_lshl_b64 s[0:1], s[0:1], 14
	s_add_u32 s0, s2, s0
	s_addc_u32 s1, s3, s1
	v_add_co_u32 v0, vcc_lo, s0, v0
	v_add_co_ci_u32_e64 v1, null, s1, v1, vcc_lo
	s_waitcnt vmcnt(1)
	global_store_dword v[0:1], v8, off
	s_waitcnt vmcnt(0)
	global_store_dword v[0:1], v9, off offset:128
	s_endpgm
	.section	.rodata,"a",@progbits
	.p2align	6, 0x0
	.amdhsa_kernel _Z20gated_delta_net_cudaILi64ELb1ELb0EEvPKfS1_S1_S1_S1_S1_Pfllllllllllll15HIP_vector_typeIjLj3EES4_fi
		.amdhsa_group_segment_fixed_size 0
		.amdhsa_private_segment_fixed_size 0
		.amdhsa_kernarg_size 440
		.amdhsa_user_sgpr_count 6
		.amdhsa_user_sgpr_private_segment_buffer 1
		.amdhsa_user_sgpr_dispatch_ptr 0
		.amdhsa_user_sgpr_queue_ptr 0
		.amdhsa_user_sgpr_kernarg_segment_ptr 1
		.amdhsa_user_sgpr_dispatch_id 0
		.amdhsa_user_sgpr_flat_scratch_init 0
		.amdhsa_user_sgpr_private_segment_size 0
		.amdhsa_wavefront_size32 1
		.amdhsa_uses_dynamic_stack 0
		.amdhsa_system_sgpr_private_segment_wavefront_offset 0
		.amdhsa_system_sgpr_workgroup_id_x 1
		.amdhsa_system_sgpr_workgroup_id_y 1
		.amdhsa_system_sgpr_workgroup_id_z 1
		.amdhsa_system_sgpr_workgroup_info 0
		.amdhsa_system_vgpr_workitem_id 1
		.amdhsa_next_free_vgpr 32
		.amdhsa_next_free_sgpr 53
		.amdhsa_reserve_vcc 1
		.amdhsa_reserve_flat_scratch 0
		.amdhsa_float_round_mode_32 0
		.amdhsa_float_round_mode_16_64 0
		.amdhsa_float_denorm_mode_32 3
		.amdhsa_float_denorm_mode_16_64 3
		.amdhsa_dx10_clamp 1
		.amdhsa_ieee_mode 1
		.amdhsa_fp16_overflow 0
		.amdhsa_workgroup_processor_mode 1
		.amdhsa_memory_ordered 1
		.amdhsa_forward_progress 1
		.amdhsa_shared_vgpr_count 0
		.amdhsa_exception_fp_ieee_invalid_op 0
		.amdhsa_exception_fp_denorm_src 0
		.amdhsa_exception_fp_ieee_div_zero 0
		.amdhsa_exception_fp_ieee_overflow 0
		.amdhsa_exception_fp_ieee_underflow 0
		.amdhsa_exception_fp_ieee_inexact 0
		.amdhsa_exception_int_div_zero 0
	.end_amdhsa_kernel
	.section	.text._Z20gated_delta_net_cudaILi64ELb1ELb0EEvPKfS1_S1_S1_S1_S1_Pfllllllllllll15HIP_vector_typeIjLj3EES4_fi,"axG",@progbits,_Z20gated_delta_net_cudaILi64ELb1ELb0EEvPKfS1_S1_S1_S1_S1_Pfllllllllllll15HIP_vector_typeIjLj3EES4_fi,comdat
.Lfunc_end6:
	.size	_Z20gated_delta_net_cudaILi64ELb1ELb0EEvPKfS1_S1_S1_S1_S1_Pfllllllllllll15HIP_vector_typeIjLj3EES4_fi, .Lfunc_end6-_Z20gated_delta_net_cudaILi64ELb1ELb0EEvPKfS1_S1_S1_S1_S1_Pfllllllllllll15HIP_vector_typeIjLj3EES4_fi
                                        ; -- End function
	.set _Z20gated_delta_net_cudaILi64ELb1ELb0EEvPKfS1_S1_S1_S1_S1_Pfllllllllllll15HIP_vector_typeIjLj3EES4_fi.num_vgpr, 32
	.set _Z20gated_delta_net_cudaILi64ELb1ELb0EEvPKfS1_S1_S1_S1_S1_Pfllllllllllll15HIP_vector_typeIjLj3EES4_fi.num_agpr, 0
	.set _Z20gated_delta_net_cudaILi64ELb1ELb0EEvPKfS1_S1_S1_S1_S1_Pfllllllllllll15HIP_vector_typeIjLj3EES4_fi.numbered_sgpr, 53
	.set _Z20gated_delta_net_cudaILi64ELb1ELb0EEvPKfS1_S1_S1_S1_S1_Pfllllllllllll15HIP_vector_typeIjLj3EES4_fi.num_named_barrier, 0
	.set _Z20gated_delta_net_cudaILi64ELb1ELb0EEvPKfS1_S1_S1_S1_S1_Pfllllllllllll15HIP_vector_typeIjLj3EES4_fi.private_seg_size, 0
	.set _Z20gated_delta_net_cudaILi64ELb1ELb0EEvPKfS1_S1_S1_S1_S1_Pfllllllllllll15HIP_vector_typeIjLj3EES4_fi.uses_vcc, 1
	.set _Z20gated_delta_net_cudaILi64ELb1ELb0EEvPKfS1_S1_S1_S1_S1_Pfllllllllllll15HIP_vector_typeIjLj3EES4_fi.uses_flat_scratch, 0
	.set _Z20gated_delta_net_cudaILi64ELb1ELb0EEvPKfS1_S1_S1_S1_S1_Pfllllllllllll15HIP_vector_typeIjLj3EES4_fi.has_dyn_sized_stack, 0
	.set _Z20gated_delta_net_cudaILi64ELb1ELb0EEvPKfS1_S1_S1_S1_S1_Pfllllllllllll15HIP_vector_typeIjLj3EES4_fi.has_recursion, 0
	.set _Z20gated_delta_net_cudaILi64ELb1ELb0EEvPKfS1_S1_S1_S1_S1_Pfllllllllllll15HIP_vector_typeIjLj3EES4_fi.has_indirect_call, 0
	.section	.AMDGPU.csdata,"",@progbits
; Kernel info:
; codeLenInByte = 1500
; TotalNumSgprs: 55
; NumVgprs: 32
; ScratchSize: 0
; MemoryBound: 0
; FloatMode: 240
; IeeeMode: 1
; LDSByteSize: 0 bytes/workgroup (compile time only)
; SGPRBlocks: 0
; VGPRBlocks: 3
; NumSGPRsForWavesPerEU: 55
; NumVGPRsForWavesPerEU: 32
; Occupancy: 16
; WaveLimiterHint : 1
; COMPUTE_PGM_RSRC2:SCRATCH_EN: 0
; COMPUTE_PGM_RSRC2:USER_SGPR: 6
; COMPUTE_PGM_RSRC2:TRAP_HANDLER: 0
; COMPUTE_PGM_RSRC2:TGID_X_EN: 1
; COMPUTE_PGM_RSRC2:TGID_Y_EN: 1
; COMPUTE_PGM_RSRC2:TGID_Z_EN: 1
; COMPUTE_PGM_RSRC2:TIDIG_COMP_CNT: 1
	.section	.text._Z20gated_delta_net_cudaILi128ELb1ELb0EEvPKfS1_S1_S1_S1_S1_Pfllllllllllll15HIP_vector_typeIjLj3EES4_fi,"axG",@progbits,_Z20gated_delta_net_cudaILi128ELb1ELb0EEvPKfS1_S1_S1_S1_S1_Pfllllllllllll15HIP_vector_typeIjLj3EES4_fi,comdat
	.protected	_Z20gated_delta_net_cudaILi128ELb1ELb0EEvPKfS1_S1_S1_S1_S1_Pfllllllllllll15HIP_vector_typeIjLj3EES4_fi ; -- Begin function _Z20gated_delta_net_cudaILi128ELb1ELb0EEvPKfS1_S1_S1_S1_S1_Pfllllllllllll15HIP_vector_typeIjLj3EES4_fi
	.globl	_Z20gated_delta_net_cudaILi128ELb1ELb0EEvPKfS1_S1_S1_S1_S1_Pfllllllllllll15HIP_vector_typeIjLj3EES4_fi
	.p2align	8
	.type	_Z20gated_delta_net_cudaILi128ELb1ELb0EEvPKfS1_S1_S1_S1_S1_Pfllllllllllll15HIP_vector_typeIjLj3EES4_fi,@function
_Z20gated_delta_net_cudaILi128ELb1ELb0EEvPKfS1_S1_S1_S1_S1_Pfllllllllllll15HIP_vector_typeIjLj3EES4_fi: ; @_Z20gated_delta_net_cudaILi128ELb1ELb0EEvPKfS1_S1_S1_S1_S1_Pfllllllllllll15HIP_vector_typeIjLj3EES4_fi
; %bb.0:
	s_clause 0x1
	s_load_dword s0, s[4:5], 0xc4
	s_load_dwordx16 s[12:27], s[4:5], 0x0
	s_mov_b32 s1, 0
	v_lshlrev_b32_e32 v10, 2, v0
	s_load_dwordx16 s[36:51], s[4:5], 0x40
	v_mov_b32_e32 v11, 0
	s_waitcnt lgkmcnt(0)
	s_lshr_b32 s0, s0, 16
	s_mul_hi_u32 s2, s26, s7
	v_mad_u64_u32 v[3:4], null, s8, s0, v[1:2]
	s_mul_i32 s0, s27, s7
	s_mul_i32 s28, s26, s7
	s_add_i32 s29, s2, s0
	s_lshl_b32 s0, s6, 14
	s_lshl_b64 s[2:3], s[28:29], 16
	s_add_u32 s2, s22, s2
	v_lshlrev_b32_e32 v1, 7, v3
	s_addc_u32 s3, s23, s3
	s_lshl_b64 s[0:1], s[0:1], 2
	s_add_u32 s0, s2, s0
	v_ashrrev_i32_e32 v2, 31, v1
	s_addc_u32 s1, s3, s1
	v_lshlrev_b64 v[4:5], 2, v[1:2]
	v_add_co_u32 v2, vcc_lo, s0, v4
	v_add_co_ci_u32_e64 v5, null, s1, v5, vcc_lo
	v_cmp_lt_i64_e64 s0, s[36:37], 1
	v_add_co_u32 v4, vcc_lo, v2, v10
	v_add_co_ci_u32_e64 v5, null, 0, v5, vcc_lo
	s_clause 0x3
	global_load_dword v6, v[4:5], off
	global_load_dword v7, v[4:5], off offset:128
	global_load_dword v8, v[4:5], off offset:256
	;; [unrolled: 1-line block ×3, first 2 shown]
	s_and_b32 vcc_lo, exec_lo, s0
	s_cbranch_vccnz .LBB7_5
; %bb.1:
	s_clause 0x4
	s_load_dwordx4 s[8:11], s[4:5], 0x98
	s_load_dword s31, s[4:5], 0xa8
	s_load_dwordx4 s[0:3], s[4:5], 0x80
	s_load_dwordx2 s[22:23], s[4:5], 0x90
	s_load_dword s30, s[4:5], 0xb0
	v_mbcnt_lo_u32_b32 v2, -1, 0
	s_mul_i32 s4, s28, s37
	s_mul_hi_u32 s5, s28, s36
	s_mul_i32 s33, s29, s36
	s_add_i32 s4, s5, s4
	v_xor_b32_e32 v4, 16, v2
	s_mul_i32 s5, s28, s36
	s_add_i32 s33, s4, s33
	s_add_u32 s4, s5, s6
	s_addc_u32 s5, s33, 0
	v_cmp_gt_i32_e32 vcc_lo, 32, v4
	v_xor_b32_e32 v5, 8, v2
	s_lshl_b64 s[4:5], s[4:5], 9
	s_mul_i32 s51, s51, s7
	v_xor_b32_e32 v14, 1, v2
	s_waitcnt lgkmcnt(0)
	s_mul_hi_u32 s8, s8, s6
	s_mul_hi_u32 s11, s11, s7
	s_add_i32 s8, s6, s8
	s_add_i32 s11, s7, s11
	s_lshr_b32 s8, s8, s9
	s_lshr_b32 s9, s11, s31
	v_cndmask_b32_e32 v4, v2, v4, vcc_lo
	s_mul_i32 s11, s45, s9
	s_mul_hi_u32 s31, s44, s9
	s_mul_i32 s10, s8, s10
	s_mul_i32 s8, s44, s9
	s_add_i32 s9, s31, s11
	s_sub_i32 s10, s6, s10
	s_lshl_b64 s[8:9], s[8:9], 2
	s_mul_i32 s11, s41, s10
	s_mul_hi_u32 s31, s40, s10
	v_lshlrev_b32_e32 v12, 2, v4
	v_xor_b32_e32 v4, 4, v2
	v_cmp_gt_i32_e32 vcc_lo, 32, v5
	s_add_u32 s33, s12, s8
	s_mul_i32 s10, s40, s10
	s_addc_u32 s13, s13, s9
	s_add_i32 s11, s31, s11
	v_cndmask_b32_e32 v13, v2, v5, vcc_lo
	s_lshl_b64 s[10:11], s[10:11], 2
	v_xor_b32_e32 v5, 2, v2
	v_cmp_gt_i32_e32 vcc_lo, 32, v4
	s_add_u32 s31, s33, s10
	s_addc_u32 s33, s13, s11
	s_add_u32 s8, s14, s8
	s_mul_hi_u32 s40, s50, s7
	s_addc_u32 s9, s15, s9
	s_add_u32 s34, s8, s10
	v_cndmask_b32_e32 v15, v2, v4, vcc_lo
	v_cmp_gt_i32_e32 vcc_lo, 32, v5
	s_mul_i32 s12, s50, s7
	s_addc_u32 s35, s9, s11
	s_add_i32 s13, s40, s51
	v_ashrrev_i32_e32 v4, 31, v3
	s_lshl_b64 s[8:9], s[12:13], 2
	s_mul_i32 s10, s47, s6
	s_add_u32 s11, s16, s8
	s_mul_hi_u32 s8, s46, s6
	v_cndmask_b32_e32 v16, v2, v5, vcc_lo
	v_cmp_gt_i32_e32 vcc_lo, 32, v14
	s_addc_u32 s12, s17, s9
	s_add_i32 s9, s8, s10
	s_mul_i32 s8, s46, s6
	v_lshlrev_b64 v[4:5], 2, v[3:4]
	s_lshl_b64 s[8:9], s[8:9], 2
	v_cndmask_b32_e32 v2, v2, v14, vcc_lo
	s_add_u32 s8, s11, s8
	s_mul_i32 s10, s23, s7
	s_mul_hi_u32 s11, s22, s7
	s_addc_u32 s9, s12, s9
	s_add_i32 s11, s11, s10
	s_mul_i32 s1, s1, s6
	s_mul_hi_u32 s10, s0, s6
	v_lshlrev_b32_e32 v14, 2, v15
	s_add_i32 s10, s10, s1
	v_lshlrev_b32_e32 v15, 2, v16
	v_lshlrev_b32_e32 v16, 2, v2
	v_add_co_u32 v2, vcc_lo, s8, v4
	s_mul_i32 s7, s22, s7
	s_mul_i32 s0, s0, s6
	s_add_u32 s1, s24, s4
	v_add_co_ci_u32_e64 v3, null, s9, v5, vcc_lo
	s_addc_u32 s14, s25, s5
	s_lshl_b64 s[4:5], s[26:27], 9
	s_lshl_b64 s[8:9], s[42:43], 2
	s_add_u32 s12, s7, s0
	s_addc_u32 s13, s11, s10
	v_add_co_u32 v4, vcc_lo, s1, v4
	s_lshl_b64 s[10:11], s[12:13], 9
	v_lshlrev_b32_e32 v13, 2, v13
	s_add_u32 s1, s18, s10
	v_cmp_eq_u32_e64 s0, 0, v0
	v_add_co_ci_u32_e64 v5, null, s14, v5, vcc_lo
	s_addc_u32 s7, s19, s11
	s_lshl_b64 s[14:15], s[12:13], 2
	s_lshl_b64 s[10:11], s[2:3], 9
	;; [unrolled: 1-line block ×3, first 2 shown]
	s_add_u32 s14, s20, s14
	s_addc_u32 s15, s21, s15
	s_lshl_b64 s[2:3], s[2:3], 2
	s_mov_b64 s[16:17], 0
	s_branch .LBB7_3
.LBB7_2:                                ;   in Loop: Header=BB7_3 Depth=1
	s_or_b32 exec_lo, exec_lo, s18
	s_add_u32 s16, s16, 1
	s_addc_u32 s17, s17, 0
	v_add_co_u32 v4, vcc_lo, v4, s4
	s_add_u32 s31, s31, s8
	s_addc_u32 s33, s33, s9
	v_cmp_le_i64_e64 s18, s[36:37], s[16:17]
	v_add_co_ci_u32_e64 v5, null, s5, v5, vcc_lo
	s_add_u32 s1, s1, s10
	v_add_co_u32 v2, vcc_lo, v2, s12
	s_addc_u32 s7, s7, s11
	s_add_u32 s34, s34, s8
	v_add_co_ci_u32_e64 v3, null, s13, v3, vcc_lo
	s_addc_u32 s35, s35, s9
	s_add_u32 s14, s14, s2
	s_addc_u32 s15, s15, s3
	s_and_b32 vcc_lo, exec_lo, s18
	s_cbranch_vccnz .LBB7_5
.LBB7_3:                                ; =>This Inner Loop Header: Depth=1
	v_add_co_u32 v17, s18, s1, v10
	s_waitcnt lgkmcnt(0)
	v_add_co_ci_u32_e64 v18, null, s7, 0, s18
	s_clause 0x3
	global_load_dword v19, v[17:18], off
	global_load_dword v20, v[17:18], off offset:128
	global_load_dword v21, v[17:18], off offset:256
	global_load_dword v22, v[17:18], off offset:384
	v_add_co_u32 v17, s18, s34, v10
	v_add_co_ci_u32_e64 v18, null, s35, 0, s18
	s_clause 0x3
	global_load_dword v23, v[17:18], off
	global_load_dword v24, v[17:18], off offset:128
	global_load_dword v25, v[17:18], off offset:256
	;; [unrolled: 1-line block ×3, first 2 shown]
	global_load_dword v27, v[2:3], off
	global_load_dword v28, v11, s[14:15]
	v_add_co_u32 v17, s18, s31, v10
	v_add_co_ci_u32_e64 v18, null, s33, 0, s18
	s_clause 0x3
	global_load_dword v29, v[17:18], off
	global_load_dword v30, v[17:18], off offset:128
	global_load_dword v31, v[17:18], off offset:256
	;; [unrolled: 1-line block ×3, first 2 shown]
	s_waitcnt vmcnt(13)
	v_mul_f32_e32 v18, 0x3fb8aa3b, v19
	s_waitcnt vmcnt(12)
	v_mul_f32_e32 v32, 0x3fb8aa3b, v20
	;; [unrolled: 2-line block ×4, first 2 shown]
	v_cmp_ngt_f32_e32 vcc_lo, 0xc2ce8ed0, v19
	v_fma_f32 v35, 0x3fb8aa3b, v19, -v18
	v_rndne_f32_e32 v36, v18
	v_fma_f32 v37, 0x3fb8aa3b, v20, -v32
	v_rndne_f32_e32 v38, v32
	v_fma_f32 v39, 0x3fb8aa3b, v21, -v33
	v_fmac_f32_e32 v35, 0x32a5705f, v19
	v_sub_f32_e32 v18, v18, v36
	v_fmac_f32_e32 v37, 0x32a5705f, v20
	v_sub_f32_e32 v32, v32, v38
	v_rndne_f32_e32 v40, v33
	v_fmac_f32_e32 v39, 0x32a5705f, v21
	v_add_f32_e32 v18, v18, v35
	v_cvt_i32_f32_e32 v35, v36
	v_add_f32_e32 v32, v32, v37
	v_sub_f32_e32 v33, v33, v40
	v_fma_f32 v41, 0x3fb8aa3b, v22, -v34
	v_exp_f32_e32 v18, v18
	v_rndne_f32_e32 v42, v34
	v_exp_f32_e32 v32, v32
	v_add_f32_e32 v33, v33, v39
	v_cvt_i32_f32_e32 v36, v38
	v_fmac_f32_e32 v41, 0x32a5705f, v22
	v_sub_f32_e32 v34, v34, v42
	v_cvt_i32_f32_e32 v37, v40
	v_exp_f32_e32 v33, v33
	v_ldexp_f32 v18, v18, v35
	v_add_f32_e32 v34, v34, v41
	v_ldexp_f32 v32, v32, v36
	v_cvt_i32_f32_e32 v35, v42
	v_cndmask_b32_e32 v18, 0, v18, vcc_lo
	v_cmp_ngt_f32_e32 vcc_lo, 0xc2ce8ed0, v20
	v_exp_f32_e32 v34, v34
	v_ldexp_f32 v33, v33, v37
	v_cndmask_b32_e32 v32, 0, v32, vcc_lo
	v_cmp_nlt_f32_e32 vcc_lo, 0x42b17218, v19
	v_ldexp_f32 v34, v34, v35
	v_cndmask_b32_e32 v18, 0x7f800000, v18, vcc_lo
	v_cmp_ngt_f32_e32 vcc_lo, 0xc2ce8ed0, v21
	v_mul_f32_e32 v6, v6, v18
	v_cndmask_b32_e32 v19, 0, v33, vcc_lo
	v_cmp_nlt_f32_e32 vcc_lo, 0x42b17218, v20
	v_cndmask_b32_e32 v20, 0x7f800000, v32, vcc_lo
	v_cmp_ngt_f32_e32 vcc_lo, 0xc2ce8ed0, v22
	v_mul_f32_e32 v7, v7, v20
	v_cndmask_b32_e32 v18, 0, v34, vcc_lo
	v_cmp_nlt_f32_e32 vcc_lo, 0x42b17218, v21
	s_waitcnt vmcnt(9)
	v_fma_f32 v20, v23, v6, 0
	v_cndmask_b32_e32 v19, 0x7f800000, v19, vcc_lo
	v_cmp_nlt_f32_e32 vcc_lo, 0x42b17218, v22
	s_waitcnt vmcnt(8)
	v_fmac_f32_e32 v20, v24, v7
	v_mul_f32_e32 v8, v8, v19
	v_cndmask_b32_e32 v18, 0x7f800000, v18, vcc_lo
	s_waitcnt vmcnt(7)
	v_fmac_f32_e32 v20, v25, v8
	v_mul_f32_e32 v9, v9, v18
	s_waitcnt vmcnt(6)
	v_fmac_f32_e32 v20, v26, v9
	ds_bpermute_b32 v18, v12, v20
	s_waitcnt lgkmcnt(0)
	v_add_f32_e32 v18, v20, v18
	ds_bpermute_b32 v19, v13, v18
	s_waitcnt lgkmcnt(0)
	v_add_f32_e32 v18, v18, v19
	;; [unrolled: 3-line block ×5, first 2 shown]
	s_waitcnt vmcnt(5)
	v_sub_f32_e32 v18, v27, v18
	s_waitcnt vmcnt(4)
	v_mul_f32_e32 v18, v28, v18
	v_fmac_f32_e32 v6, v18, v23
	v_fmac_f32_e32 v7, v18, v24
	;; [unrolled: 1-line block ×4, first 2 shown]
	s_waitcnt vmcnt(3)
	v_fma_f32 v19, v29, v6, 0
	s_waitcnt vmcnt(2)
	v_fmac_f32_e32 v19, v30, v7
	s_waitcnt vmcnt(1)
	v_fmac_f32_e32 v19, v31, v8
	;; [unrolled: 2-line block ×3, first 2 shown]
	ds_bpermute_b32 v17, v12, v19
	s_waitcnt lgkmcnt(0)
	v_add_f32_e32 v17, v19, v17
	ds_bpermute_b32 v18, v13, v17
	s_waitcnt lgkmcnt(0)
	v_add_f32_e32 v17, v17, v18
	;; [unrolled: 3-line block ×4, first 2 shown]
	ds_bpermute_b32 v18, v16, v17
	s_and_saveexec_b32 s18, s0
	s_cbranch_execz .LBB7_2
; %bb.4:                                ;   in Loop: Header=BB7_3 Depth=1
	s_waitcnt lgkmcnt(0)
	v_add_f32_e32 v17, v17, v18
	v_mul_f32_e32 v17, s30, v17
	global_store_dword v[4:5], v17, off
	s_branch .LBB7_2
.LBB7_5:
	s_mul_i32 s0, s26, s37
	s_mul_hi_u32 s1, s26, s36
	s_mul_i32 s2, s26, s36
	s_add_i32 s0, s1, s0
	s_mul_i32 s1, s27, s36
	s_mul_i32 s3, s2, s39
	s_mul_hi_u32 s4, s2, s38
	s_add_i32 s0, s0, s1
	v_add_nc_u32_e32 v0, v1, v0
	s_add_i32 s1, s4, s3
	s_mul_i32 s0, s0, s38
	s_add_i32 s1, s1, s0
	s_mul_i32 s0, s2, s38
	v_ashrrev_i32_e32 v1, 31, v0
	s_lshl_b64 s[0:1], s[0:1], 9
	s_add_u32 s2, s24, s0
	s_addc_u32 s3, s25, s1
	s_add_u32 s0, s28, s6
	s_addc_u32 s1, s29, 0
	v_lshlrev_b64 v[0:1], 2, v[0:1]
	s_lshl_b64 s[0:1], s[0:1], 16
	s_add_u32 s0, s2, s0
	s_addc_u32 s1, s3, s1
	v_add_co_u32 v0, vcc_lo, s0, v0
	v_add_co_ci_u32_e64 v1, null, s1, v1, vcc_lo
	s_waitcnt vmcnt(3)
	global_store_dword v[0:1], v6, off
	s_waitcnt vmcnt(2)
	global_store_dword v[0:1], v7, off offset:128
	s_waitcnt vmcnt(1)
	global_store_dword v[0:1], v8, off offset:256
	;; [unrolled: 2-line block ×3, first 2 shown]
	s_endpgm
	.section	.rodata,"a",@progbits
	.p2align	6, 0x0
	.amdhsa_kernel _Z20gated_delta_net_cudaILi128ELb1ELb0EEvPKfS1_S1_S1_S1_S1_Pfllllllllllll15HIP_vector_typeIjLj3EES4_fi
		.amdhsa_group_segment_fixed_size 0
		.amdhsa_private_segment_fixed_size 0
		.amdhsa_kernarg_size 440
		.amdhsa_user_sgpr_count 6
		.amdhsa_user_sgpr_private_segment_buffer 1
		.amdhsa_user_sgpr_dispatch_ptr 0
		.amdhsa_user_sgpr_queue_ptr 0
		.amdhsa_user_sgpr_kernarg_segment_ptr 1
		.amdhsa_user_sgpr_dispatch_id 0
		.amdhsa_user_sgpr_flat_scratch_init 0
		.amdhsa_user_sgpr_private_segment_size 0
		.amdhsa_wavefront_size32 1
		.amdhsa_uses_dynamic_stack 0
		.amdhsa_system_sgpr_private_segment_wavefront_offset 0
		.amdhsa_system_sgpr_workgroup_id_x 1
		.amdhsa_system_sgpr_workgroup_id_y 1
		.amdhsa_system_sgpr_workgroup_id_z 1
		.amdhsa_system_sgpr_workgroup_info 0
		.amdhsa_system_vgpr_workitem_id 1
		.amdhsa_next_free_vgpr 43
		.amdhsa_next_free_sgpr 52
		.amdhsa_reserve_vcc 1
		.amdhsa_reserve_flat_scratch 0
		.amdhsa_float_round_mode_32 0
		.amdhsa_float_round_mode_16_64 0
		.amdhsa_float_denorm_mode_32 3
		.amdhsa_float_denorm_mode_16_64 3
		.amdhsa_dx10_clamp 1
		.amdhsa_ieee_mode 1
		.amdhsa_fp16_overflow 0
		.amdhsa_workgroup_processor_mode 1
		.amdhsa_memory_ordered 1
		.amdhsa_forward_progress 1
		.amdhsa_shared_vgpr_count 0
		.amdhsa_exception_fp_ieee_invalid_op 0
		.amdhsa_exception_fp_denorm_src 0
		.amdhsa_exception_fp_ieee_div_zero 0
		.amdhsa_exception_fp_ieee_overflow 0
		.amdhsa_exception_fp_ieee_underflow 0
		.amdhsa_exception_fp_ieee_inexact 0
		.amdhsa_exception_int_div_zero 0
	.end_amdhsa_kernel
	.section	.text._Z20gated_delta_net_cudaILi128ELb1ELb0EEvPKfS1_S1_S1_S1_S1_Pfllllllllllll15HIP_vector_typeIjLj3EES4_fi,"axG",@progbits,_Z20gated_delta_net_cudaILi128ELb1ELb0EEvPKfS1_S1_S1_S1_S1_Pfllllllllllll15HIP_vector_typeIjLj3EES4_fi,comdat
.Lfunc_end7:
	.size	_Z20gated_delta_net_cudaILi128ELb1ELb0EEvPKfS1_S1_S1_S1_S1_Pfllllllllllll15HIP_vector_typeIjLj3EES4_fi, .Lfunc_end7-_Z20gated_delta_net_cudaILi128ELb1ELb0EEvPKfS1_S1_S1_S1_S1_Pfllllllllllll15HIP_vector_typeIjLj3EES4_fi
                                        ; -- End function
	.set _Z20gated_delta_net_cudaILi128ELb1ELb0EEvPKfS1_S1_S1_S1_S1_Pfllllllllllll15HIP_vector_typeIjLj3EES4_fi.num_vgpr, 43
	.set _Z20gated_delta_net_cudaILi128ELb1ELb0EEvPKfS1_S1_S1_S1_S1_Pfllllllllllll15HIP_vector_typeIjLj3EES4_fi.num_agpr, 0
	.set _Z20gated_delta_net_cudaILi128ELb1ELb0EEvPKfS1_S1_S1_S1_S1_Pfllllllllllll15HIP_vector_typeIjLj3EES4_fi.numbered_sgpr, 52
	.set _Z20gated_delta_net_cudaILi128ELb1ELb0EEvPKfS1_S1_S1_S1_S1_Pfllllllllllll15HIP_vector_typeIjLj3EES4_fi.num_named_barrier, 0
	.set _Z20gated_delta_net_cudaILi128ELb1ELb0EEvPKfS1_S1_S1_S1_S1_Pfllllllllllll15HIP_vector_typeIjLj3EES4_fi.private_seg_size, 0
	.set _Z20gated_delta_net_cudaILi128ELb1ELb0EEvPKfS1_S1_S1_S1_S1_Pfllllllllllll15HIP_vector_typeIjLj3EES4_fi.uses_vcc, 1
	.set _Z20gated_delta_net_cudaILi128ELb1ELb0EEvPKfS1_S1_S1_S1_S1_Pfllllllllllll15HIP_vector_typeIjLj3EES4_fi.uses_flat_scratch, 0
	.set _Z20gated_delta_net_cudaILi128ELb1ELb0EEvPKfS1_S1_S1_S1_S1_Pfllllllllllll15HIP_vector_typeIjLj3EES4_fi.has_dyn_sized_stack, 0
	.set _Z20gated_delta_net_cudaILi128ELb1ELb0EEvPKfS1_S1_S1_S1_S1_Pfllllllllllll15HIP_vector_typeIjLj3EES4_fi.has_recursion, 0
	.set _Z20gated_delta_net_cudaILi128ELb1ELb0EEvPKfS1_S1_S1_S1_S1_Pfllllllllllll15HIP_vector_typeIjLj3EES4_fi.has_indirect_call, 0
	.section	.AMDGPU.csdata,"",@progbits
; Kernel info:
; codeLenInByte = 1772
; TotalNumSgprs: 54
; NumVgprs: 43
; ScratchSize: 0
; MemoryBound: 0
; FloatMode: 240
; IeeeMode: 1
; LDSByteSize: 0 bytes/workgroup (compile time only)
; SGPRBlocks: 0
; VGPRBlocks: 5
; NumSGPRsForWavesPerEU: 54
; NumVGPRsForWavesPerEU: 43
; Occupancy: 16
; WaveLimiterHint : 1
; COMPUTE_PGM_RSRC2:SCRATCH_EN: 0
; COMPUTE_PGM_RSRC2:USER_SGPR: 6
; COMPUTE_PGM_RSRC2:TRAP_HANDLER: 0
; COMPUTE_PGM_RSRC2:TGID_X_EN: 1
; COMPUTE_PGM_RSRC2:TGID_Y_EN: 1
; COMPUTE_PGM_RSRC2:TGID_Z_EN: 1
; COMPUTE_PGM_RSRC2:TIDIG_COMP_CNT: 1
	.section	.text._Z20gated_delta_net_cudaILi16ELb0ELb1EEvPKfS1_S1_S1_S1_S1_Pfllllllllllll15HIP_vector_typeIjLj3EES4_fi,"axG",@progbits,_Z20gated_delta_net_cudaILi16ELb0ELb1EEvPKfS1_S1_S1_S1_S1_Pfllllllllllll15HIP_vector_typeIjLj3EES4_fi,comdat
	.protected	_Z20gated_delta_net_cudaILi16ELb0ELb1EEvPKfS1_S1_S1_S1_S1_Pfllllllllllll15HIP_vector_typeIjLj3EES4_fi ; -- Begin function _Z20gated_delta_net_cudaILi16ELb0ELb1EEvPKfS1_S1_S1_S1_S1_Pfllllllllllll15HIP_vector_typeIjLj3EES4_fi
	.globl	_Z20gated_delta_net_cudaILi16ELb0ELb1EEvPKfS1_S1_S1_S1_S1_Pfllllllllllll15HIP_vector_typeIjLj3EES4_fi
	.p2align	8
	.type	_Z20gated_delta_net_cudaILi16ELb0ELb1EEvPKfS1_S1_S1_S1_S1_Pfllllllllllll15HIP_vector_typeIjLj3EES4_fi,@function
_Z20gated_delta_net_cudaILi16ELb0ELb1EEvPKfS1_S1_S1_S1_S1_Pfllllllllllll15HIP_vector_typeIjLj3EES4_fi: ; @_Z20gated_delta_net_cudaILi16ELb0ELb1EEvPKfS1_S1_S1_S1_S1_Pfllllllllllll15HIP_vector_typeIjLj3EES4_fi
; %bb.0:
	s_load_dwordx16 s[12:27], s[4:5], 0x40
	s_waitcnt lgkmcnt(0)
	v_cmp_lt_i64_e64 s0, s[12:13], 1
	s_and_b32 vcc_lo, exec_lo, s0
	s_cbranch_vccnz .LBB8_7
; %bb.1:
	s_clause 0x1
	s_load_dwordx16 s[36:51], s[4:5], 0x0
	s_load_dword s28, s[4:5], 0xc4
	s_mov_b32 s1, 0
	v_lshlrev_b32_e32 v12, 2, v0
	s_clause 0x1
	s_load_dwordx4 s[52:55], s[4:5], 0x98
	s_load_dword s33, s[4:5], 0xa8
	v_mov_b32_e32 v6, 0
	s_waitcnt lgkmcnt(0)
	s_mul_i32 s3, s51, s7
	s_mul_hi_u32 s10, s50, s7
	s_mul_i32 s0, s50, s15
	s_mul_hi_u32 s9, s50, s14
	s_mul_i32 s2, s50, s7
	s_add_i32 s3, s10, s3
	s_mul_i32 s15, s51, s14
	s_add_i32 s0, s9, s0
	s_lshl_b64 s[10:11], s[2:3], 10
	s_add_i32 s9, s0, s15
	s_add_u32 s10, s46, s10
	s_addc_u32 s11, s47, s11
	s_lshl_b32 s0, s6, 8
	s_lshl_b64 s[0:1], s[0:1], 2
	s_add_u32 s0, s10, s0
	s_addc_u32 s1, s11, s1
	s_lshr_b32 s10, s28, 16
	v_mad_u64_u32 v[1:2], null, s8, s10, v[1:2]
	s_mul_i32 s10, s3, s12
	s_mul_i32 s8, s50, s14
	v_lshlrev_b32_e32 v3, 4, v1
	v_ashrrev_i32_e32 v4, 31, v3
	v_lshlrev_b64 v[4:5], 2, v[3:4]
	v_add_nc_u32_e32 v3, v3, v0
	v_add_co_u32 v2, vcc_lo, s0, v4
	v_add_co_ci_u32_e64 v5, null, s1, v5, vcc_lo
	s_mul_i32 s0, s2, s13
	v_add_co_u32 v4, vcc_lo, v2, v12
	v_add_co_ci_u32_e64 v5, null, 0, v5, vcc_lo
	s_mul_hi_u32 s1, s2, s12
	s_add_i32 s0, s1, s0
	global_load_dword v5, v[4:5], off
	v_mbcnt_lo_u32_b32 v4, -1, 0
	s_mul_i32 s1, s2, s12
	s_add_i32 s10, s0, s10
	s_add_u32 s0, s1, s6
	s_addc_u32 s1, s10, 0
	v_and_b32_e32 v2, 16, v4
	v_xor_b32_e32 v9, 4, v4
	s_lshl_b64 s[28:29], s[0:1], 6
	s_mul_i32 s0, s8, s13
	s_mul_hi_u32 s1, s8, s12
	v_add_nc_u32_e32 v8, 16, v2
	v_xor_b32_e32 v2, 8, v4
	s_add_u32 s10, s2, s6
	s_addc_u32 s11, s3, 0
	s_add_i32 s0, s1, s0
	s_mul_i32 s1, s9, s12
	v_cmp_lt_i32_e32 vcc_lo, v2, v8
	v_xor_b32_e32 v10, 2, v4
	s_add_i32 s1, s0, s1
	s_mul_i32 s0, s8, s12
	v_xor_b32_e32 v11, 1, v4
	v_cndmask_b32_e32 v2, v4, v2, vcc_lo
	v_cmp_lt_i32_e32 vcc_lo, v9, v8
	s_lshl_b64 s[14:15], s[0:1], 6
	s_clause 0x1
	s_load_dwordx4 s[0:3], s[4:5], 0x80
	s_load_dwordx2 s[30:31], s[4:5], 0x90
	s_add_u32 s34, s48, s14
	s_mul_hi_u32 s14, s55, s7
	v_cndmask_b32_e32 v9, v4, v9, vcc_lo
	v_cmp_lt_i32_e32 vcc_lo, v10, v8
	s_addc_u32 s35, s49, s15
	s_add_i32 s14, s7, s14
	s_mul_hi_u32 s15, s52, s6
	s_lshr_b32 s33, s14, s33
	s_add_i32 s14, s6, s15
	v_cndmask_b32_e32 v10, v4, v10, vcc_lo
	v_cmp_lt_i32_e32 vcc_lo, v11, v8
	s_mul_i32 s15, s27, s7
	s_mul_hi_u32 s27, s26, s7
	s_lshr_b32 s46, s14, s53
	s_add_i32 s15, s27, s15
	s_mul_i32 s14, s26, s7
	s_mul_i32 s46, s46, s54
	s_lshl_b64 s[14:15], s[14:15], 2
	v_cndmask_b32_e32 v4, v4, v11, vcc_lo
	s_sub_i32 s26, s6, s46
	s_add_u32 s27, s40, s14
	s_addc_u32 s40, s41, s15
	s_mul_i32 s14, s23, s6
	s_mul_hi_u32 s15, s22, s6
	v_lshlrev_b32_e32 v7, 2, v2
	v_ashrrev_i32_e32 v2, 31, v1
	s_add_i32 s15, s15, s14
	s_mul_i32 s14, s22, s6
	v_lshlrev_b32_e32 v8, 2, v9
	v_lshlrev_b32_e32 v9, 2, v10
	;; [unrolled: 1-line block ×3, first 2 shown]
	v_ashrrev_i32_e32 v4, 31, v3
	s_lshl_b64 s[14:15], s[14:15], 2
	s_waitcnt lgkmcnt(0)
	s_mul_i32 s22, s31, s7
	s_mul_hi_u32 s23, s30, s7
	v_lshlrev_b64 v[14:15], 2, v[1:2]
	s_add_u32 s14, s27, s14
	s_addc_u32 s15, s40, s15
	s_add_i32 s23, s23, s22
	s_mul_i32 s1, s1, s6
	s_mul_hi_u32 s22, s0, s6
	v_lshlrev_b64 v[3:4], 2, v[3:4]
	s_mul_i32 s27, s30, s7
	s_mul_i32 s30, s0, s6
	s_lshl_b64 s[6:7], s[8:9], 8
	s_lshl_b64 s[8:9], s[10:11], 10
	s_add_i32 s22, s22, s1
	s_add_u32 s1, s34, s8
	v_add_co_u32 v1, vcc_lo, s14, v14
	s_addc_u32 s8, s35, s9
	s_mul_i32 s9, s21, s33
	s_mul_hi_u32 s10, s20, s33
	v_add_co_ci_u32_e64 v2, null, s15, v15, vcc_lo
	v_cmp_eq_u32_e64 s0, 0, v0
	v_add_co_u32 v0, vcc_lo, s1, v3
	s_add_i32 s9, s10, s9
	s_mul_i32 s1, s17, s26
	s_mul_hi_u32 s10, s16, s26
	s_load_dwordx2 s[4:5], s[4:5], 0xb0
	v_add_co_ci_u32_e64 v11, null, s8, v4, vcc_lo
	s_mul_i32 s8, s20, s33
	s_add_i32 s11, s10, s1
	s_mul_i32 s10, s16, s26
	s_lshl_b64 s[8:9], s[8:9], 2
	s_lshl_b64 s[10:11], s[10:11], 2
	s_add_i32 s1, s12, -1
	s_add_u32 s16, s8, s10
	s_addc_u32 s17, s9, s11
	s_lshl_b64 s[8:9], s[18:19], 2
	s_lshl_b64 s[10:11], s[24:25], 2
	s_add_u32 s14, s27, s30
	s_addc_u32 s15, s23, s22
	v_add_co_u32 v12, s16, s16, v12
	s_lshl_b64 s[14:15], s[14:15], 2
	s_lshl_b64 s[2:3], s[2:3], 2
	v_add_co_ci_u32_e64 v13, null, s17, 0, s16
	s_add_u32 s16, s48, s28
	s_addc_u32 s17, s49, s29
	v_add_co_u32 v3, vcc_lo, s16, v14
	v_add_co_ci_u32_e64 v4, null, s17, v15, vcc_lo
	s_lshl_b64 s[16:17], s[50:51], 6
	s_mov_b64 s[18:19], 0
	s_branch .LBB8_3
.LBB8_2:                                ;   in Loop: Header=BB8_3 Depth=1
	s_add_u32 s18, s18, 1
	v_add_co_u32 v12, vcc_lo, v12, s8
	s_addc_u32 s19, s19, 0
	v_add_co_ci_u32_e64 v13, null, s9, v13, vcc_lo
	v_add_co_u32 v1, vcc_lo, v1, s10
	v_cmp_le_i64_e64 s20, s[12:13], s[18:19]
	v_add_co_ci_u32_e64 v2, null, s11, v2, vcc_lo
	v_add_co_u32 v3, vcc_lo, v3, s16
	v_add_co_ci_u32_e64 v4, null, s17, v4, vcc_lo
	s_add_i32 s1, s1, -1
	s_add_u32 s14, s14, s2
	s_addc_u32 s15, s15, s3
	s_and_b32 vcc_lo, exec_lo, s20
	s_cbranch_vccnz .LBB8_7
.LBB8_3:                                ; =>This Inner Loop Header: Depth=1
	v_add_co_u32 v14, vcc_lo, s38, v12
	s_waitcnt lgkmcnt(0)
	v_add_co_ci_u32_e64 v15, null, s39, v13, vcc_lo
	s_add_u32 s20, s44, s14
	s_addc_u32 s21, s45, s15
	s_add_u32 s22, s42, s14
	global_load_dword v16, v[14:15], off
	s_addc_u32 s23, s43, s15
	global_load_dword v17, v6, s[22:23]
	global_load_dword v18, v[1:2], off
	global_load_dword v19, v6, s[20:21]
	v_add_co_u32 v14, vcc_lo, s36, v12
	v_add_co_ci_u32_e64 v15, null, s37, v13, vcc_lo
	global_load_dword v14, v[14:15], off
	s_waitcnt vmcnt(4)
	v_fma_f32 v15, v5, v16, 0
	s_waitcnt vmcnt(3)
	v_mul_f32_e32 v21, 0x3fb8aa3b, v17
	v_cmp_ngt_f32_e32 vcc_lo, 0xc2ce8ed0, v17
	ds_bpermute_b32 v20, v7, v15
	v_fma_f32 v22, 0x3fb8aa3b, v17, -v21
	v_rndne_f32_e32 v23, v21
	v_fmac_f32_e32 v22, 0x32a5705f, v17
	v_sub_f32_e32 v21, v21, v23
	v_add_f32_e32 v21, v21, v22
	v_cvt_i32_f32_e32 v22, v23
	s_waitcnt lgkmcnt(0)
	v_add_f32_e32 v15, v15, v20
	ds_bpermute_b32 v20, v8, v15
	s_waitcnt lgkmcnt(0)
	v_add_f32_e32 v15, v15, v20
	ds_bpermute_b32 v20, v9, v15
	s_waitcnt lgkmcnt(0)
	v_add_f32_e32 v15, v15, v20
	v_exp_f32_e32 v20, v21
	ds_bpermute_b32 v21, v10, v15
	v_ldexp_f32 v20, v20, v22
	v_cndmask_b32_e32 v20, 0, v20, vcc_lo
	v_cmp_nlt_f32_e32 vcc_lo, 0x42b17218, v17
	v_cndmask_b32_e32 v17, 0x7f800000, v20, vcc_lo
	s_waitcnt lgkmcnt(0)
	v_add_f32_e32 v15, v15, v21
	v_mul_f32_e32 v5, v17, v5
	s_waitcnt vmcnt(2)
	v_fma_f32 v15, -v17, v15, v18
	s_waitcnt vmcnt(1)
	v_mul_f32_e32 v15, v19, v15
	v_fmac_f32_e32 v5, v16, v15
	s_waitcnt vmcnt(0)
	v_fma_f32 v14, v14, v5, 0
	ds_bpermute_b32 v15, v7, v14
	s_waitcnt lgkmcnt(0)
	v_add_f32_e32 v14, v14, v15
	ds_bpermute_b32 v15, v8, v14
	s_waitcnt lgkmcnt(0)
	v_add_f32_e32 v14, v14, v15
	;; [unrolled: 3-line block ×3, first 2 shown]
	ds_bpermute_b32 v15, v10, v14
	s_and_saveexec_b32 s20, s0
	s_cbranch_execz .LBB8_5
; %bb.4:                                ;   in Loop: Header=BB8_3 Depth=1
	s_waitcnt lgkmcnt(0)
	v_add_f32_e32 v14, v14, v15
	v_mul_f32_e32 v14, s4, v14
	global_store_dword v[3:4], v14, off
.LBB8_5:                                ;   in Loop: Header=BB8_3 Depth=1
	s_or_b32 exec_lo, exec_lo, s20
	s_cmp_lt_i32 s1, 0
	s_cselect_b32 s20, -1, 0
	s_cmp_ge_i32 s1, s5
	s_cselect_b32 s21, -1, 0
	s_or_b32 s20, s20, s21
	s_and_b32 vcc_lo, exec_lo, s20
	s_cbranch_vccnz .LBB8_2
; %bb.6:                                ;   in Loop: Header=BB8_3 Depth=1
	s_mul_i32 s21, s7, s1
	s_mul_hi_u32 s22, s6, s1
	s_mul_i32 s20, s6, s1
	s_add_i32 s21, s22, s21
	s_lshl_b64 s[20:21], s[20:21], 2
	v_add_co_u32 v14, vcc_lo, v0, s20
	s_waitcnt lgkmcnt(0)
	v_add_co_ci_u32_e64 v15, null, s21, v11, vcc_lo
	global_store_dword v[14:15], v5, off
	s_branch .LBB8_2
.LBB8_7:
	s_endpgm
	.section	.rodata,"a",@progbits
	.p2align	6, 0x0
	.amdhsa_kernel _Z20gated_delta_net_cudaILi16ELb0ELb1EEvPKfS1_S1_S1_S1_S1_Pfllllllllllll15HIP_vector_typeIjLj3EES4_fi
		.amdhsa_group_segment_fixed_size 0
		.amdhsa_private_segment_fixed_size 0
		.amdhsa_kernarg_size 440
		.amdhsa_user_sgpr_count 6
		.amdhsa_user_sgpr_private_segment_buffer 1
		.amdhsa_user_sgpr_dispatch_ptr 0
		.amdhsa_user_sgpr_queue_ptr 0
		.amdhsa_user_sgpr_kernarg_segment_ptr 1
		.amdhsa_user_sgpr_dispatch_id 0
		.amdhsa_user_sgpr_flat_scratch_init 0
		.amdhsa_user_sgpr_private_segment_size 0
		.amdhsa_wavefront_size32 1
		.amdhsa_uses_dynamic_stack 0
		.amdhsa_system_sgpr_private_segment_wavefront_offset 0
		.amdhsa_system_sgpr_workgroup_id_x 1
		.amdhsa_system_sgpr_workgroup_id_y 1
		.amdhsa_system_sgpr_workgroup_id_z 1
		.amdhsa_system_sgpr_workgroup_info 0
		.amdhsa_system_vgpr_workitem_id 1
		.amdhsa_next_free_vgpr 24
		.amdhsa_next_free_sgpr 56
		.amdhsa_reserve_vcc 1
		.amdhsa_reserve_flat_scratch 0
		.amdhsa_float_round_mode_32 0
		.amdhsa_float_round_mode_16_64 0
		.amdhsa_float_denorm_mode_32 3
		.amdhsa_float_denorm_mode_16_64 3
		.amdhsa_dx10_clamp 1
		.amdhsa_ieee_mode 1
		.amdhsa_fp16_overflow 0
		.amdhsa_workgroup_processor_mode 1
		.amdhsa_memory_ordered 1
		.amdhsa_forward_progress 1
		.amdhsa_shared_vgpr_count 0
		.amdhsa_exception_fp_ieee_invalid_op 0
		.amdhsa_exception_fp_denorm_src 0
		.amdhsa_exception_fp_ieee_div_zero 0
		.amdhsa_exception_fp_ieee_overflow 0
		.amdhsa_exception_fp_ieee_underflow 0
		.amdhsa_exception_fp_ieee_inexact 0
		.amdhsa_exception_int_div_zero 0
	.end_amdhsa_kernel
	.section	.text._Z20gated_delta_net_cudaILi16ELb0ELb1EEvPKfS1_S1_S1_S1_S1_Pfllllllllllll15HIP_vector_typeIjLj3EES4_fi,"axG",@progbits,_Z20gated_delta_net_cudaILi16ELb0ELb1EEvPKfS1_S1_S1_S1_S1_Pfllllllllllll15HIP_vector_typeIjLj3EES4_fi,comdat
.Lfunc_end8:
	.size	_Z20gated_delta_net_cudaILi16ELb0ELb1EEvPKfS1_S1_S1_S1_S1_Pfllllllllllll15HIP_vector_typeIjLj3EES4_fi, .Lfunc_end8-_Z20gated_delta_net_cudaILi16ELb0ELb1EEvPKfS1_S1_S1_S1_S1_Pfllllllllllll15HIP_vector_typeIjLj3EES4_fi
                                        ; -- End function
	.set _Z20gated_delta_net_cudaILi16ELb0ELb1EEvPKfS1_S1_S1_S1_S1_Pfllllllllllll15HIP_vector_typeIjLj3EES4_fi.num_vgpr, 24
	.set _Z20gated_delta_net_cudaILi16ELb0ELb1EEvPKfS1_S1_S1_S1_S1_Pfllllllllllll15HIP_vector_typeIjLj3EES4_fi.num_agpr, 0
	.set _Z20gated_delta_net_cudaILi16ELb0ELb1EEvPKfS1_S1_S1_S1_S1_Pfllllllllllll15HIP_vector_typeIjLj3EES4_fi.numbered_sgpr, 56
	.set _Z20gated_delta_net_cudaILi16ELb0ELb1EEvPKfS1_S1_S1_S1_S1_Pfllllllllllll15HIP_vector_typeIjLj3EES4_fi.num_named_barrier, 0
	.set _Z20gated_delta_net_cudaILi16ELb0ELb1EEvPKfS1_S1_S1_S1_S1_Pfllllllllllll15HIP_vector_typeIjLj3EES4_fi.private_seg_size, 0
	.set _Z20gated_delta_net_cudaILi16ELb0ELb1EEvPKfS1_S1_S1_S1_S1_Pfllllllllllll15HIP_vector_typeIjLj3EES4_fi.uses_vcc, 1
	.set _Z20gated_delta_net_cudaILi16ELb0ELb1EEvPKfS1_S1_S1_S1_S1_Pfllllllllllll15HIP_vector_typeIjLj3EES4_fi.uses_flat_scratch, 0
	.set _Z20gated_delta_net_cudaILi16ELb0ELb1EEvPKfS1_S1_S1_S1_S1_Pfllllllllllll15HIP_vector_typeIjLj3EES4_fi.has_dyn_sized_stack, 0
	.set _Z20gated_delta_net_cudaILi16ELb0ELb1EEvPKfS1_S1_S1_S1_S1_Pfllllllllllll15HIP_vector_typeIjLj3EES4_fi.has_recursion, 0
	.set _Z20gated_delta_net_cudaILi16ELb0ELb1EEvPKfS1_S1_S1_S1_S1_Pfllllllllllll15HIP_vector_typeIjLj3EES4_fi.has_indirect_call, 0
	.section	.AMDGPU.csdata,"",@progbits
; Kernel info:
; codeLenInByte = 1296
; TotalNumSgprs: 58
; NumVgprs: 24
; ScratchSize: 0
; MemoryBound: 0
; FloatMode: 240
; IeeeMode: 1
; LDSByteSize: 0 bytes/workgroup (compile time only)
; SGPRBlocks: 0
; VGPRBlocks: 2
; NumSGPRsForWavesPerEU: 58
; NumVGPRsForWavesPerEU: 24
; Occupancy: 16
; WaveLimiterHint : 1
; COMPUTE_PGM_RSRC2:SCRATCH_EN: 0
; COMPUTE_PGM_RSRC2:USER_SGPR: 6
; COMPUTE_PGM_RSRC2:TRAP_HANDLER: 0
; COMPUTE_PGM_RSRC2:TGID_X_EN: 1
; COMPUTE_PGM_RSRC2:TGID_Y_EN: 1
; COMPUTE_PGM_RSRC2:TGID_Z_EN: 1
; COMPUTE_PGM_RSRC2:TIDIG_COMP_CNT: 1
	.section	.text._Z20gated_delta_net_cudaILi32ELb0ELb1EEvPKfS1_S1_S1_S1_S1_Pfllllllllllll15HIP_vector_typeIjLj3EES4_fi,"axG",@progbits,_Z20gated_delta_net_cudaILi32ELb0ELb1EEvPKfS1_S1_S1_S1_S1_Pfllllllllllll15HIP_vector_typeIjLj3EES4_fi,comdat
	.protected	_Z20gated_delta_net_cudaILi32ELb0ELb1EEvPKfS1_S1_S1_S1_S1_Pfllllllllllll15HIP_vector_typeIjLj3EES4_fi ; -- Begin function _Z20gated_delta_net_cudaILi32ELb0ELb1EEvPKfS1_S1_S1_S1_S1_Pfllllllllllll15HIP_vector_typeIjLj3EES4_fi
	.globl	_Z20gated_delta_net_cudaILi32ELb0ELb1EEvPKfS1_S1_S1_S1_S1_Pfllllllllllll15HIP_vector_typeIjLj3EES4_fi
	.p2align	8
	.type	_Z20gated_delta_net_cudaILi32ELb0ELb1EEvPKfS1_S1_S1_S1_S1_Pfllllllllllll15HIP_vector_typeIjLj3EES4_fi,@function
_Z20gated_delta_net_cudaILi32ELb0ELb1EEvPKfS1_S1_S1_S1_S1_Pfllllllllllll15HIP_vector_typeIjLj3EES4_fi: ; @_Z20gated_delta_net_cudaILi32ELb0ELb1EEvPKfS1_S1_S1_S1_S1_Pfllllllllllll15HIP_vector_typeIjLj3EES4_fi
; %bb.0:
	s_load_dwordx16 s[12:27], s[4:5], 0x40
	s_waitcnt lgkmcnt(0)
	v_cmp_lt_i64_e64 s0, s[12:13], 1
	s_and_b32 vcc_lo, exec_lo, s0
	s_cbranch_vccnz .LBB9_7
; %bb.1:
	s_clause 0x1
	s_load_dwordx16 s[36:51], s[4:5], 0x0
	s_load_dword s28, s[4:5], 0xc4
	s_mov_b32 s1, 0
	v_lshlrev_b32_e32 v13, 2, v0
	s_clause 0x1
	s_load_dwordx4 s[52:55], s[4:5], 0x98
	s_load_dword s33, s[4:5], 0xa8
	v_mov_b32_e32 v6, 0
	s_waitcnt lgkmcnt(0)
	s_mul_i32 s3, s51, s7
	s_mul_hi_u32 s10, s50, s7
	s_mul_i32 s0, s50, s15
	s_mul_hi_u32 s9, s50, s14
	s_mul_i32 s2, s50, s7
	s_add_i32 s3, s10, s3
	s_mul_i32 s15, s51, s14
	s_add_i32 s0, s9, s0
	s_lshl_b64 s[10:11], s[2:3], 12
	s_add_i32 s9, s0, s15
	s_add_u32 s10, s46, s10
	s_addc_u32 s11, s47, s11
	s_lshl_b32 s0, s6, 10
	s_lshl_b64 s[0:1], s[0:1], 2
	s_add_u32 s0, s10, s0
	s_addc_u32 s1, s11, s1
	s_lshr_b32 s10, s28, 16
	v_mad_u64_u32 v[1:2], null, s8, s10, v[1:2]
	s_mul_i32 s10, s3, s12
	s_mul_i32 s8, s50, s14
	v_lshlrev_b32_e32 v3, 5, v1
	v_ashrrev_i32_e32 v4, 31, v3
	v_lshlrev_b64 v[4:5], 2, v[3:4]
	v_add_nc_u32_e32 v3, v3, v0
	v_add_co_u32 v2, vcc_lo, s0, v4
	v_add_co_ci_u32_e64 v5, null, s1, v5, vcc_lo
	s_mul_i32 s0, s2, s13
	v_add_co_u32 v4, vcc_lo, v2, v13
	v_add_co_ci_u32_e64 v5, null, 0, v5, vcc_lo
	s_mul_hi_u32 s1, s2, s12
	s_add_i32 s0, s1, s0
	global_load_dword v5, v[4:5], off
	v_mbcnt_lo_u32_b32 v4, -1, 0
	s_mul_i32 s1, s2, s12
	s_add_i32 s10, s0, s10
	s_add_u32 s0, s1, s6
	s_addc_u32 s1, s10, 0
	v_xor_b32_e32 v2, 16, v4
	v_xor_b32_e32 v7, 8, v4
	;; [unrolled: 1-line block ×3, first 2 shown]
	s_lshl_b64 s[28:29], s[0:1], 7
	s_mul_i32 s0, s8, s13
	v_cmp_gt_i32_e32 vcc_lo, 32, v2
	s_mul_hi_u32 s1, s8, s12
	s_add_u32 s10, s2, s6
	s_addc_u32 s11, s3, 0
	s_add_i32 s0, s1, s0
	v_cndmask_b32_e32 v2, v4, v2, vcc_lo
	v_cmp_gt_i32_e32 vcc_lo, 32, v7
	s_mul_i32 s1, s9, s12
	v_xor_b32_e32 v10, 2, v4
	s_add_i32 s1, s0, s1
	s_mul_i32 s0, s8, s12
	v_cndmask_b32_e32 v8, v4, v7, vcc_lo
	v_cmp_gt_i32_e32 vcc_lo, 32, v9
	s_lshl_b64 s[14:15], s[0:1], 7
	s_clause 0x1
	s_load_dwordx4 s[0:3], s[4:5], 0x80
	s_load_dwordx2 s[30:31], s[4:5], 0x90
	v_xor_b32_e32 v11, 1, v4
	s_add_u32 s34, s48, s14
	v_cndmask_b32_e32 v9, v4, v9, vcc_lo
	v_cmp_gt_i32_e32 vcc_lo, 32, v10
	s_mul_hi_u32 s14, s55, s7
	s_addc_u32 s35, s49, s15
	s_add_i32 s14, s7, s14
	s_mul_hi_u32 s15, s52, s6
	s_lshr_b32 s33, s14, s33
	s_add_i32 s14, s6, s15
	v_cndmask_b32_e32 v10, v4, v10, vcc_lo
	v_cmp_gt_i32_e32 vcc_lo, 32, v11
	s_mul_i32 s15, s27, s7
	s_mul_hi_u32 s27, s26, s7
	s_lshr_b32 s46, s14, s53
	s_add_i32 s15, s27, s15
	s_mul_i32 s14, s26, s7
	s_mul_i32 s46, s46, s54
	s_lshl_b64 s[14:15], s[14:15], 2
	v_cndmask_b32_e32 v4, v4, v11, vcc_lo
	s_sub_i32 s26, s6, s46
	s_add_u32 s27, s40, s14
	s_mul_i32 s14, s23, s6
	s_mul_hi_u32 s23, s22, s6
	v_lshlrev_b32_e32 v7, 2, v2
	v_ashrrev_i32_e32 v2, 31, v1
	s_addc_u32 s40, s41, s15
	s_add_i32 s15, s23, s14
	s_mul_i32 s14, s22, s6
	v_lshlrev_b32_e32 v11, 2, v4
	v_ashrrev_i32_e32 v4, 31, v3
	s_lshl_b64 s[14:15], s[14:15], 2
	s_waitcnt lgkmcnt(0)
	s_mul_i32 s22, s31, s7
	s_mul_hi_u32 s23, s30, s7
	s_add_u32 s14, s27, s14
	v_lshlrev_b64 v[15:16], 2, v[1:2]
	s_addc_u32 s15, s40, s15
	s_add_i32 s23, s23, s22
	s_mul_i32 s22, s30, s7
	s_mul_i32 s1, s1, s6
	s_mul_hi_u32 s7, s0, s6
	v_lshlrev_b64 v[3:4], 2, v[3:4]
	s_add_i32 s27, s7, s1
	s_mul_i32 s30, s0, s6
	s_lshl_b64 s[6:7], s[8:9], 10
	s_lshl_b64 s[8:9], s[10:11], 12
	v_add_co_u32 v1, vcc_lo, s14, v15
	s_add_u32 s1, s34, s8
	s_addc_u32 s8, s35, s9
	s_mul_i32 s9, s21, s33
	s_mul_hi_u32 s10, s20, s33
	v_add_co_ci_u32_e64 v2, null, s15, v16, vcc_lo
	v_cmp_eq_u32_e64 s0, 0, v0
	v_add_co_u32 v0, vcc_lo, s1, v3
	s_add_i32 s9, s10, s9
	s_mul_i32 s1, s17, s26
	s_mul_hi_u32 s10, s16, s26
	s_load_dwordx2 s[4:5], s[4:5], 0xb0
	v_add_co_ci_u32_e64 v12, null, s8, v4, vcc_lo
	s_mul_i32 s8, s20, s33
	s_add_i32 s11, s10, s1
	s_mul_i32 s10, s16, s26
	s_lshl_b64 s[8:9], s[8:9], 2
	s_lshl_b64 s[10:11], s[10:11], 2
	s_add_i32 s1, s12, -1
	s_add_u32 s16, s8, s10
	s_addc_u32 s17, s9, s11
	s_lshl_b64 s[8:9], s[18:19], 2
	s_lshl_b64 s[10:11], s[24:25], 2
	s_add_u32 s14, s22, s30
	s_addc_u32 s15, s23, s27
	v_add_co_u32 v13, s16, s16, v13
	s_lshl_b64 s[14:15], s[14:15], 2
	s_lshl_b64 s[2:3], s[2:3], 2
	v_add_co_ci_u32_e64 v14, null, s17, 0, s16
	s_add_u32 s16, s48, s28
	s_addc_u32 s17, s49, s29
	v_add_co_u32 v3, vcc_lo, s16, v15
	v_lshlrev_b32_e32 v8, 2, v8
	v_lshlrev_b32_e32 v9, 2, v9
	;; [unrolled: 1-line block ×3, first 2 shown]
	v_add_co_ci_u32_e64 v4, null, s17, v16, vcc_lo
	s_lshl_b64 s[16:17], s[50:51], 7
	s_mov_b64 s[18:19], 0
	s_branch .LBB9_3
.LBB9_2:                                ;   in Loop: Header=BB9_3 Depth=1
	s_add_u32 s18, s18, 1
	v_add_co_u32 v13, vcc_lo, v13, s8
	s_addc_u32 s19, s19, 0
	v_add_co_ci_u32_e64 v14, null, s9, v14, vcc_lo
	v_add_co_u32 v1, vcc_lo, v1, s10
	v_cmp_le_i64_e64 s20, s[12:13], s[18:19]
	v_add_co_ci_u32_e64 v2, null, s11, v2, vcc_lo
	v_add_co_u32 v3, vcc_lo, v3, s16
	v_add_co_ci_u32_e64 v4, null, s17, v4, vcc_lo
	s_add_i32 s1, s1, -1
	s_add_u32 s14, s14, s2
	s_addc_u32 s15, s15, s3
	s_and_b32 vcc_lo, exec_lo, s20
	s_cbranch_vccnz .LBB9_7
.LBB9_3:                                ; =>This Inner Loop Header: Depth=1
	v_add_co_u32 v15, vcc_lo, s38, v13
	s_waitcnt lgkmcnt(0)
	v_add_co_ci_u32_e64 v16, null, s39, v14, vcc_lo
	s_add_u32 s20, s44, s14
	s_addc_u32 s21, s45, s15
	s_add_u32 s22, s42, s14
	global_load_dword v17, v[15:16], off
	s_addc_u32 s23, s43, s15
	global_load_dword v18, v6, s[22:23]
	global_load_dword v19, v[1:2], off
	global_load_dword v20, v6, s[20:21]
	v_add_co_u32 v15, vcc_lo, s36, v13
	v_add_co_ci_u32_e64 v16, null, s37, v14, vcc_lo
	global_load_dword v15, v[15:16], off
	s_waitcnt vmcnt(4)
	v_fma_f32 v16, v5, v17, 0
	s_waitcnt vmcnt(3)
	v_mul_f32_e32 v22, 0x3fb8aa3b, v18
	v_cmp_ngt_f32_e32 vcc_lo, 0xc2ce8ed0, v18
	ds_bpermute_b32 v21, v7, v16
	v_fma_f32 v23, 0x3fb8aa3b, v18, -v22
	v_rndne_f32_e32 v24, v22
	v_fmac_f32_e32 v23, 0x32a5705f, v18
	v_sub_f32_e32 v22, v22, v24
	v_add_f32_e32 v22, v22, v23
	v_cvt_i32_f32_e32 v23, v24
	s_waitcnt lgkmcnt(0)
	v_add_f32_e32 v16, v16, v21
	ds_bpermute_b32 v21, v8, v16
	s_waitcnt lgkmcnt(0)
	v_add_f32_e32 v16, v16, v21
	ds_bpermute_b32 v21, v9, v16
	;; [unrolled: 3-line block ×3, first 2 shown]
	s_waitcnt lgkmcnt(0)
	v_add_f32_e32 v16, v16, v21
	v_exp_f32_e32 v21, v22
	ds_bpermute_b32 v22, v11, v16
	v_ldexp_f32 v21, v21, v23
	v_cndmask_b32_e32 v21, 0, v21, vcc_lo
	v_cmp_nlt_f32_e32 vcc_lo, 0x42b17218, v18
	v_cndmask_b32_e32 v18, 0x7f800000, v21, vcc_lo
	s_waitcnt lgkmcnt(0)
	v_add_f32_e32 v16, v16, v22
	v_mul_f32_e32 v5, v18, v5
	s_waitcnt vmcnt(2)
	v_fma_f32 v16, -v18, v16, v19
	s_waitcnt vmcnt(1)
	v_mul_f32_e32 v16, v20, v16
	v_fmac_f32_e32 v5, v17, v16
	s_waitcnt vmcnt(0)
	v_fma_f32 v15, v15, v5, 0
	ds_bpermute_b32 v16, v7, v15
	s_waitcnt lgkmcnt(0)
	v_add_f32_e32 v15, v15, v16
	ds_bpermute_b32 v16, v8, v15
	s_waitcnt lgkmcnt(0)
	v_add_f32_e32 v15, v15, v16
	;; [unrolled: 3-line block ×4, first 2 shown]
	ds_bpermute_b32 v16, v11, v15
	s_and_saveexec_b32 s20, s0
	s_cbranch_execz .LBB9_5
; %bb.4:                                ;   in Loop: Header=BB9_3 Depth=1
	s_waitcnt lgkmcnt(0)
	v_add_f32_e32 v15, v15, v16
	v_mul_f32_e32 v15, s4, v15
	global_store_dword v[3:4], v15, off
.LBB9_5:                                ;   in Loop: Header=BB9_3 Depth=1
	s_or_b32 exec_lo, exec_lo, s20
	s_cmp_lt_i32 s1, 0
	s_cselect_b32 s20, -1, 0
	s_cmp_ge_i32 s1, s5
	s_cselect_b32 s21, -1, 0
	s_or_b32 s20, s20, s21
	s_and_b32 vcc_lo, exec_lo, s20
	s_cbranch_vccnz .LBB9_2
; %bb.6:                                ;   in Loop: Header=BB9_3 Depth=1
	s_mul_i32 s21, s7, s1
	s_mul_hi_u32 s22, s6, s1
	s_mul_i32 s20, s6, s1
	s_add_i32 s21, s22, s21
	s_lshl_b64 s[20:21], s[20:21], 2
	v_add_co_u32 v15, vcc_lo, v0, s20
	s_waitcnt lgkmcnt(0)
	v_add_co_ci_u32_e64 v16, null, s21, v12, vcc_lo
	global_store_dword v[15:16], v5, off
	s_branch .LBB9_2
.LBB9_7:
	s_endpgm
	.section	.rodata,"a",@progbits
	.p2align	6, 0x0
	.amdhsa_kernel _Z20gated_delta_net_cudaILi32ELb0ELb1EEvPKfS1_S1_S1_S1_S1_Pfllllllllllll15HIP_vector_typeIjLj3EES4_fi
		.amdhsa_group_segment_fixed_size 0
		.amdhsa_private_segment_fixed_size 0
		.amdhsa_kernarg_size 440
		.amdhsa_user_sgpr_count 6
		.amdhsa_user_sgpr_private_segment_buffer 1
		.amdhsa_user_sgpr_dispatch_ptr 0
		.amdhsa_user_sgpr_queue_ptr 0
		.amdhsa_user_sgpr_kernarg_segment_ptr 1
		.amdhsa_user_sgpr_dispatch_id 0
		.amdhsa_user_sgpr_flat_scratch_init 0
		.amdhsa_user_sgpr_private_segment_size 0
		.amdhsa_wavefront_size32 1
		.amdhsa_uses_dynamic_stack 0
		.amdhsa_system_sgpr_private_segment_wavefront_offset 0
		.amdhsa_system_sgpr_workgroup_id_x 1
		.amdhsa_system_sgpr_workgroup_id_y 1
		.amdhsa_system_sgpr_workgroup_id_z 1
		.amdhsa_system_sgpr_workgroup_info 0
		.amdhsa_system_vgpr_workitem_id 1
		.amdhsa_next_free_vgpr 25
		.amdhsa_next_free_sgpr 56
		.amdhsa_reserve_vcc 1
		.amdhsa_reserve_flat_scratch 0
		.amdhsa_float_round_mode_32 0
		.amdhsa_float_round_mode_16_64 0
		.amdhsa_float_denorm_mode_32 3
		.amdhsa_float_denorm_mode_16_64 3
		.amdhsa_dx10_clamp 1
		.amdhsa_ieee_mode 1
		.amdhsa_fp16_overflow 0
		.amdhsa_workgroup_processor_mode 1
		.amdhsa_memory_ordered 1
		.amdhsa_forward_progress 1
		.amdhsa_shared_vgpr_count 0
		.amdhsa_exception_fp_ieee_invalid_op 0
		.amdhsa_exception_fp_denorm_src 0
		.amdhsa_exception_fp_ieee_div_zero 0
		.amdhsa_exception_fp_ieee_overflow 0
		.amdhsa_exception_fp_ieee_underflow 0
		.amdhsa_exception_fp_ieee_inexact 0
		.amdhsa_exception_int_div_zero 0
	.end_amdhsa_kernel
	.section	.text._Z20gated_delta_net_cudaILi32ELb0ELb1EEvPKfS1_S1_S1_S1_S1_Pfllllllllllll15HIP_vector_typeIjLj3EES4_fi,"axG",@progbits,_Z20gated_delta_net_cudaILi32ELb0ELb1EEvPKfS1_S1_S1_S1_S1_Pfllllllllllll15HIP_vector_typeIjLj3EES4_fi,comdat
.Lfunc_end9:
	.size	_Z20gated_delta_net_cudaILi32ELb0ELb1EEvPKfS1_S1_S1_S1_S1_Pfllllllllllll15HIP_vector_typeIjLj3EES4_fi, .Lfunc_end9-_Z20gated_delta_net_cudaILi32ELb0ELb1EEvPKfS1_S1_S1_S1_S1_Pfllllllllllll15HIP_vector_typeIjLj3EES4_fi
                                        ; -- End function
	.set _Z20gated_delta_net_cudaILi32ELb0ELb1EEvPKfS1_S1_S1_S1_S1_Pfllllllllllll15HIP_vector_typeIjLj3EES4_fi.num_vgpr, 25
	.set _Z20gated_delta_net_cudaILi32ELb0ELb1EEvPKfS1_S1_S1_S1_S1_Pfllllllllllll15HIP_vector_typeIjLj3EES4_fi.num_agpr, 0
	.set _Z20gated_delta_net_cudaILi32ELb0ELb1EEvPKfS1_S1_S1_S1_S1_Pfllllllllllll15HIP_vector_typeIjLj3EES4_fi.numbered_sgpr, 56
	.set _Z20gated_delta_net_cudaILi32ELb0ELb1EEvPKfS1_S1_S1_S1_S1_Pfllllllllllll15HIP_vector_typeIjLj3EES4_fi.num_named_barrier, 0
	.set _Z20gated_delta_net_cudaILi32ELb0ELb1EEvPKfS1_S1_S1_S1_S1_Pfllllllllllll15HIP_vector_typeIjLj3EES4_fi.private_seg_size, 0
	.set _Z20gated_delta_net_cudaILi32ELb0ELb1EEvPKfS1_S1_S1_S1_S1_Pfllllllllllll15HIP_vector_typeIjLj3EES4_fi.uses_vcc, 1
	.set _Z20gated_delta_net_cudaILi32ELb0ELb1EEvPKfS1_S1_S1_S1_S1_Pfllllllllllll15HIP_vector_typeIjLj3EES4_fi.uses_flat_scratch, 0
	.set _Z20gated_delta_net_cudaILi32ELb0ELb1EEvPKfS1_S1_S1_S1_S1_Pfllllllllllll15HIP_vector_typeIjLj3EES4_fi.has_dyn_sized_stack, 0
	.set _Z20gated_delta_net_cudaILi32ELb0ELb1EEvPKfS1_S1_S1_S1_S1_Pfllllllllllll15HIP_vector_typeIjLj3EES4_fi.has_recursion, 0
	.set _Z20gated_delta_net_cudaILi32ELb0ELb1EEvPKfS1_S1_S1_S1_S1_Pfllllllllllll15HIP_vector_typeIjLj3EES4_fi.has_indirect_call, 0
	.section	.AMDGPU.csdata,"",@progbits
; Kernel info:
; codeLenInByte = 1336
; TotalNumSgprs: 58
; NumVgprs: 25
; ScratchSize: 0
; MemoryBound: 0
; FloatMode: 240
; IeeeMode: 1
; LDSByteSize: 0 bytes/workgroup (compile time only)
; SGPRBlocks: 0
; VGPRBlocks: 3
; NumSGPRsForWavesPerEU: 58
; NumVGPRsForWavesPerEU: 25
; Occupancy: 16
; WaveLimiterHint : 1
; COMPUTE_PGM_RSRC2:SCRATCH_EN: 0
; COMPUTE_PGM_RSRC2:USER_SGPR: 6
; COMPUTE_PGM_RSRC2:TRAP_HANDLER: 0
; COMPUTE_PGM_RSRC2:TGID_X_EN: 1
; COMPUTE_PGM_RSRC2:TGID_Y_EN: 1
; COMPUTE_PGM_RSRC2:TGID_Z_EN: 1
; COMPUTE_PGM_RSRC2:TIDIG_COMP_CNT: 1
	.section	.text._Z20gated_delta_net_cudaILi64ELb0ELb1EEvPKfS1_S1_S1_S1_S1_Pfllllllllllll15HIP_vector_typeIjLj3EES4_fi,"axG",@progbits,_Z20gated_delta_net_cudaILi64ELb0ELb1EEvPKfS1_S1_S1_S1_S1_Pfllllllllllll15HIP_vector_typeIjLj3EES4_fi,comdat
	.protected	_Z20gated_delta_net_cudaILi64ELb0ELb1EEvPKfS1_S1_S1_S1_S1_Pfllllllllllll15HIP_vector_typeIjLj3EES4_fi ; -- Begin function _Z20gated_delta_net_cudaILi64ELb0ELb1EEvPKfS1_S1_S1_S1_S1_Pfllllllllllll15HIP_vector_typeIjLj3EES4_fi
	.globl	_Z20gated_delta_net_cudaILi64ELb0ELb1EEvPKfS1_S1_S1_S1_S1_Pfllllllllllll15HIP_vector_typeIjLj3EES4_fi
	.p2align	8
	.type	_Z20gated_delta_net_cudaILi64ELb0ELb1EEvPKfS1_S1_S1_S1_S1_Pfllllllllllll15HIP_vector_typeIjLj3EES4_fi,@function
_Z20gated_delta_net_cudaILi64ELb0ELb1EEvPKfS1_S1_S1_S1_S1_Pfllllllllllll15HIP_vector_typeIjLj3EES4_fi: ; @_Z20gated_delta_net_cudaILi64ELb0ELb1EEvPKfS1_S1_S1_S1_S1_Pfllllllllllll15HIP_vector_typeIjLj3EES4_fi
; %bb.0:
	s_load_dwordx16 s[12:27], s[4:5], 0x40
	s_waitcnt lgkmcnt(0)
	v_cmp_lt_i64_e64 s0, s[12:13], 1
	s_and_b32 vcc_lo, exec_lo, s0
	s_cbranch_vccnz .LBB10_7
; %bb.1:
	s_clause 0x3
	s_load_dwordx16 s[36:51], s[4:5], 0x0
	s_load_dwordx4 s[0:3], s[4:5], 0x98
	s_load_dword s9, s[4:5], 0xa8
	s_load_dword s33, s[4:5], 0xc4
	s_mov_b32 s31, 0
	v_lshlrev_b32_e32 v5, 2, v0
	s_mul_i32 s23, s23, s6
	s_waitcnt lgkmcnt(0)
	s_mul_hi_u32 s0, s0, s6
	s_mul_i32 s10, s51, s7
	s_mul_hi_u32 s11, s50, s7
	s_mul_i32 s34, s50, s7
	s_add_i32 s35, s11, s10
	s_mul_i32 s10, s34, s13
	s_mul_hi_u32 s11, s34, s12
	s_mul_i32 s28, s50, s14
	s_mul_hi_u32 s30, s50, s14
	s_mul_i32 s52, s51, s14
	s_mul_i32 s14, s35, s12
	s_add_i32 s10, s11, s10
	s_mul_i32 s11, s34, s12
	s_add_i32 s14, s10, s14
	s_add_u32 s10, s11, s6
	s_addc_u32 s11, s14, 0
	s_mul_i32 s29, s50, s15
	s_lshl_b64 s[10:11], s[10:11], 8
	s_add_u32 s14, s34, s6
	s_addc_u32 s15, s35, 0
	s_add_i32 s29, s30, s29
	s_mul_i32 s53, s28, s13
	s_mul_hi_u32 s30, s28, s12
	s_add_i32 s29, s29, s52
	s_add_i32 s30, s30, s53
	s_mul_i32 s53, s29, s12
	s_mul_i32 s52, s28, s12
	s_add_i32 s53, s30, s53
	s_mul_hi_u32 s3, s3, s7
	s_lshl_b64 s[52:53], s[52:53], 8
	s_add_u32 s52, s48, s52
	s_addc_u32 s53, s49, s53
	s_add_i32 s0, s6, s0
	s_add_i32 s3, s7, s3
	s_lshr_b32 s30, s0, s1
	s_lshl_b64 s[0:1], s[34:35], 14
	s_mul_i32 s30, s30, s2
	s_lshr_b32 s34, s3, s9
	s_sub_i32 s35, s6, s30
	s_add_u32 s2, s46, s0
	s_addc_u32 s3, s47, s1
	s_lshl_b32 s30, s6, 12
	s_lshl_b64 s[0:1], s[30:31], 2
	s_mul_hi_u32 s30, s22, s6
	s_add_u32 s0, s2, s0
	s_addc_u32 s1, s3, s1
	s_lshr_b32 s2, s33, 16
	s_mul_i32 s22, s22, s6
	v_mad_u64_u32 v[1:2], null, s8, s2, v[1:2]
	s_load_dwordx2 s[8:9], s[4:5], 0x90
	v_lshlrev_b32_e32 v3, 6, v1
	v_ashrrev_i32_e32 v4, 31, v3
	v_lshlrev_b64 v[6:7], 2, v[3:4]
	v_add_nc_u32_e32 v3, v3, v0
	v_add_co_u32 v2, vcc_lo, s0, v6
	v_add_co_ci_u32_e64 v4, null, s1, v7, vcc_lo
	s_mul_i32 s0, s27, s7
	v_add_co_u32 v8, vcc_lo, v2, v5
	v_add_co_ci_u32_e64 v9, null, 0, v4, vcc_lo
	s_clause 0x1
	global_load_dword v7, v[8:9], off
	global_load_dword v8, v[8:9], off offset:128
	v_mbcnt_lo_u32_b32 v4, -1, 0
	s_mul_hi_u32 s1, s26, s7
	s_mul_i32 s26, s26, s7
	s_add_i32 s27, s1, s0
	s_load_dwordx4 s[0:3], s[4:5], 0x80
	v_xor_b32_e32 v2, 16, v4
	v_xor_b32_e32 v9, 8, v4
	;; [unrolled: 1-line block ×5, first 2 shown]
	v_cmp_gt_i32_e32 vcc_lo, 32, v2
	s_lshl_b64 s[26:27], s[26:27], 2
	s_waitcnt lgkmcnt(0)
	s_mul_i32 s9, s9, s7
	s_add_u32 s26, s40, s26
	s_addc_u32 s27, s41, s27
	v_cndmask_b32_e32 v2, v4, v2, vcc_lo
	v_cmp_gt_i32_e32 vcc_lo, 32, v9
	s_add_i32 s23, s30, s23
	s_load_dwordx2 s[4:5], s[4:5], 0xb0
	s_lshl_b64 s[22:23], s[22:23], 2
	v_mov_b32_e32 v6, 0
	v_cndmask_b32_e32 v10, v4, v9, vcc_lo
	v_cmp_gt_i32_e32 vcc_lo, 32, v11
	v_lshlrev_b32_e32 v9, 2, v2
	v_ashrrev_i32_e32 v2, 31, v1
	s_add_u32 s22, s26, s22
	s_mul_hi_u32 s26, s8, s7
	v_cndmask_b32_e32 v11, v4, v11, vcc_lo
	v_cmp_gt_i32_e32 vcc_lo, 32, v12
	v_lshlrev_b64 v[15:16], 2, v[1:2]
	s_addc_u32 s23, s27, s23
	s_mul_i32 s27, s8, s7
	s_mul_i32 s1, s1, s6
	v_cndmask_b32_e32 v12, v4, v12, vcc_lo
	v_cmp_gt_i32_e32 vcc_lo, 32, v13
	s_mul_hi_u32 s7, s0, s6
	s_add_i32 s26, s26, s9
	s_lshl_b64 s[8:9], s[14:15], 14
	s_add_i32 s30, s7, s1
	v_cndmask_b32_e32 v4, v4, v13, vcc_lo
	s_mul_i32 s31, s0, s6
	s_lshl_b64 s[6:7], s[28:29], 12
	v_add_co_u32 v1, vcc_lo, s22, v15
	v_lshlrev_b32_e32 v13, 2, v4
	v_ashrrev_i32_e32 v4, 31, v3
	s_add_u32 s1, s52, s8
	v_add_co_ci_u32_e64 v2, null, s23, v16, vcc_lo
	v_cmp_eq_u32_e64 s0, 0, v0
	v_lshlrev_b64 v[3:4], 2, v[3:4]
	s_addc_u32 s8, s53, s9
	s_mul_hi_u32 s9, s20, s34
	v_lshlrev_b32_e32 v10, 2, v10
	v_lshlrev_b32_e32 v11, 2, v11
	;; [unrolled: 1-line block ×3, first 2 shown]
	v_add_co_u32 v0, vcc_lo, s1, v3
	s_add_i32 s1, s12, -1
	s_add_u32 s22, s48, s10
	v_add_co_ci_u32_e64 v14, null, s8, v4, vcc_lo
	s_mul_i32 s8, s21, s34
	s_addc_u32 s23, s49, s11
	s_mul_i32 s10, s17, s35
	s_mul_hi_u32 s11, s16, s35
	s_add_i32 s9, s9, s8
	s_mul_i32 s8, s20, s34
	s_add_i32 s11, s11, s10
	s_mul_i32 s10, s16, s35
	s_lshl_b64 s[14:15], s[8:9], 2
	s_lshl_b64 s[10:11], s[10:11], 2
	;; [unrolled: 1-line block ×3, first 2 shown]
	s_add_u32 s10, s14, s10
	s_addc_u32 s11, s15, s11
	s_add_u32 s16, s10, 0x80
	s_addc_u32 s17, s11, 0
	;; [unrolled: 2-line block ×3, first 2 shown]
	s_lshl_b64 s[10:11], s[18:19], 2
	s_add_u32 s14, s27, s31
	v_add_co_u32 v3, vcc_lo, s22, v15
	s_addc_u32 s15, s26, s30
	v_add_co_ci_u32_e64 v4, null, s23, v16, vcc_lo
	s_lshl_b64 s[14:15], s[14:15], 2
	s_lshl_b64 s[2:3], s[2:3], 2
	s_add_u32 s22, s38, s16
	s_addc_u32 s23, s39, s17
	s_lshl_b64 s[16:17], s[24:25], 2
	s_mov_b64 s[18:19], 0
	s_branch .LBB10_3
.LBB10_2:                               ;   in Loop: Header=BB10_3 Depth=1
	s_add_u32 s18, s18, 1
	s_addc_u32 s19, s19, 0
	v_add_co_u32 v3, vcc_lo, v3, s8
	s_add_i32 s1, s1, -1
	v_cmp_le_i64_e64 s24, s[12:13], s[18:19]
	v_add_co_ci_u32_e64 v4, null, s9, v4, vcc_lo
	s_add_u32 s20, s20, s10
	v_add_co_u32 v1, vcc_lo, v1, s16
	s_addc_u32 s21, s21, s11
	s_add_u32 s14, s14, s2
	v_add_co_ci_u32_e64 v2, null, s17, v2, vcc_lo
	s_addc_u32 s15, s15, s3
	s_add_u32 s22, s22, s10
	s_addc_u32 s23, s23, s11
	s_and_b32 vcc_lo, exec_lo, s24
	s_cbranch_vccnz .LBB10_7
.LBB10_3:                               ; =>This Inner Loop Header: Depth=1
	v_add_co_u32 v15, s24, s22, v5
	s_waitcnt lgkmcnt(0)
	v_add_co_ci_u32_e64 v16, null, s23, 0, s24
	s_add_u32 s24, s44, s14
	s_addc_u32 s25, s45, s15
	s_add_u32 s26, s42, s14
	s_clause 0x1
	global_load_dword v17, v[15:16], off offset:-128
	global_load_dword v18, v[15:16], off
	s_addc_u32 s27, s43, s15
	global_load_dword v19, v6, s[26:27]
	global_load_dword v20, v[1:2], off
	global_load_dword v21, v6, s[24:25]
	v_add_co_u32 v15, s24, s20, v5
	v_add_co_ci_u32_e64 v16, null, s21, 0, s24
	s_clause 0x1
	global_load_dword v22, v[15:16], off offset:-128
	global_load_dword v15, v[15:16], off
	s_waitcnt vmcnt(8)
	v_mov_b32_e32 v16, v7
	s_waitcnt vmcnt(7)
	v_mov_b32_e32 v23, v8
	s_waitcnt vmcnt(6)
	v_fma_f32 v7, v16, v17, 0
	s_waitcnt vmcnt(4)
	v_mul_f32_e32 v24, 0x3fb8aa3b, v19
	v_cmp_ngt_f32_e32 vcc_lo, 0xc2ce8ed0, v19
	v_fmac_f32_e32 v7, v23, v18
	v_fma_f32 v25, 0x3fb8aa3b, v19, -v24
	v_rndne_f32_e32 v26, v24
	ds_bpermute_b32 v8, v9, v7
	v_fmac_f32_e32 v25, 0x32a5705f, v19
	v_sub_f32_e32 v24, v24, v26
	v_add_f32_e32 v24, v24, v25
	v_cvt_i32_f32_e32 v25, v26
	s_waitcnt lgkmcnt(0)
	v_add_f32_e32 v7, v7, v8
	ds_bpermute_b32 v8, v10, v7
	s_waitcnt lgkmcnt(0)
	v_add_f32_e32 v7, v7, v8
	ds_bpermute_b32 v8, v11, v7
	;; [unrolled: 3-line block ×3, first 2 shown]
	s_waitcnt lgkmcnt(0)
	v_add_f32_e32 v7, v7, v8
	v_exp_f32_e32 v8, v24
	ds_bpermute_b32 v24, v13, v7
	v_ldexp_f32 v8, v8, v25
	v_cndmask_b32_e32 v8, 0, v8, vcc_lo
	v_cmp_nlt_f32_e32 vcc_lo, 0x42b17218, v19
	v_cndmask_b32_e32 v19, 0x7f800000, v8, vcc_lo
	s_waitcnt lgkmcnt(0)
	v_add_f32_e32 v7, v7, v24
	s_waitcnt vmcnt(3)
	v_fma_f32 v7, -v19, v7, v20
	s_waitcnt vmcnt(2)
	v_mul_f32_e32 v8, v21, v7
	v_mul_f32_e32 v7, v8, v17
	;; [unrolled: 1-line block ×3, first 2 shown]
	v_fmac_f32_e32 v7, v19, v16
	v_fmac_f32_e32 v8, v19, v23
	s_waitcnt vmcnt(1)
	v_fma_f32 v16, v22, v7, 0
	s_waitcnt vmcnt(0)
	v_fmac_f32_e32 v16, v15, v8
	ds_bpermute_b32 v15, v9, v16
	s_waitcnt lgkmcnt(0)
	v_add_f32_e32 v15, v16, v15
	ds_bpermute_b32 v16, v10, v15
	s_waitcnt lgkmcnt(0)
	v_add_f32_e32 v15, v15, v16
	;; [unrolled: 3-line block ×4, first 2 shown]
	ds_bpermute_b32 v16, v13, v15
	s_and_saveexec_b32 s24, s0
	s_cbranch_execz .LBB10_5
; %bb.4:                                ;   in Loop: Header=BB10_3 Depth=1
	s_waitcnt lgkmcnt(0)
	v_add_f32_e32 v15, v15, v16
	v_mul_f32_e32 v15, s4, v15
	global_store_dword v[3:4], v15, off
.LBB10_5:                               ;   in Loop: Header=BB10_3 Depth=1
	s_or_b32 exec_lo, exec_lo, s24
	s_cmp_lt_i32 s1, 0
	s_cselect_b32 s24, -1, 0
	s_cmp_ge_i32 s1, s5
	s_cselect_b32 s25, -1, 0
	s_or_b32 s24, s24, s25
	s_and_b32 vcc_lo, exec_lo, s24
	s_cbranch_vccnz .LBB10_2
; %bb.6:                                ;   in Loop: Header=BB10_3 Depth=1
	s_mul_i32 s25, s7, s1
	s_mul_hi_u32 s26, s6, s1
	s_mul_i32 s24, s6, s1
	s_add_i32 s25, s26, s25
	s_lshl_b64 s[24:25], s[24:25], 2
	v_add_co_u32 v15, vcc_lo, v0, s24
	s_waitcnt lgkmcnt(0)
	v_add_co_ci_u32_e64 v16, null, s25, v14, vcc_lo
	global_store_dword v[15:16], v7, off
	global_store_dword v[15:16], v8, off offset:128
	s_branch .LBB10_2
.LBB10_7:
	s_endpgm
	.section	.rodata,"a",@progbits
	.p2align	6, 0x0
	.amdhsa_kernel _Z20gated_delta_net_cudaILi64ELb0ELb1EEvPKfS1_S1_S1_S1_S1_Pfllllllllllll15HIP_vector_typeIjLj3EES4_fi
		.amdhsa_group_segment_fixed_size 0
		.amdhsa_private_segment_fixed_size 0
		.amdhsa_kernarg_size 440
		.amdhsa_user_sgpr_count 6
		.amdhsa_user_sgpr_private_segment_buffer 1
		.amdhsa_user_sgpr_dispatch_ptr 0
		.amdhsa_user_sgpr_queue_ptr 0
		.amdhsa_user_sgpr_kernarg_segment_ptr 1
		.amdhsa_user_sgpr_dispatch_id 0
		.amdhsa_user_sgpr_flat_scratch_init 0
		.amdhsa_user_sgpr_private_segment_size 0
		.amdhsa_wavefront_size32 1
		.amdhsa_uses_dynamic_stack 0
		.amdhsa_system_sgpr_private_segment_wavefront_offset 0
		.amdhsa_system_sgpr_workgroup_id_x 1
		.amdhsa_system_sgpr_workgroup_id_y 1
		.amdhsa_system_sgpr_workgroup_id_z 1
		.amdhsa_system_sgpr_workgroup_info 0
		.amdhsa_system_vgpr_workitem_id 1
		.amdhsa_next_free_vgpr 27
		.amdhsa_next_free_sgpr 54
		.amdhsa_reserve_vcc 1
		.amdhsa_reserve_flat_scratch 0
		.amdhsa_float_round_mode_32 0
		.amdhsa_float_round_mode_16_64 0
		.amdhsa_float_denorm_mode_32 3
		.amdhsa_float_denorm_mode_16_64 3
		.amdhsa_dx10_clamp 1
		.amdhsa_ieee_mode 1
		.amdhsa_fp16_overflow 0
		.amdhsa_workgroup_processor_mode 1
		.amdhsa_memory_ordered 1
		.amdhsa_forward_progress 1
		.amdhsa_shared_vgpr_count 0
		.amdhsa_exception_fp_ieee_invalid_op 0
		.amdhsa_exception_fp_denorm_src 0
		.amdhsa_exception_fp_ieee_div_zero 0
		.amdhsa_exception_fp_ieee_overflow 0
		.amdhsa_exception_fp_ieee_underflow 0
		.amdhsa_exception_fp_ieee_inexact 0
		.amdhsa_exception_int_div_zero 0
	.end_amdhsa_kernel
	.section	.text._Z20gated_delta_net_cudaILi64ELb0ELb1EEvPKfS1_S1_S1_S1_S1_Pfllllllllllll15HIP_vector_typeIjLj3EES4_fi,"axG",@progbits,_Z20gated_delta_net_cudaILi64ELb0ELb1EEvPKfS1_S1_S1_S1_S1_Pfllllllllllll15HIP_vector_typeIjLj3EES4_fi,comdat
.Lfunc_end10:
	.size	_Z20gated_delta_net_cudaILi64ELb0ELb1EEvPKfS1_S1_S1_S1_S1_Pfllllllllllll15HIP_vector_typeIjLj3EES4_fi, .Lfunc_end10-_Z20gated_delta_net_cudaILi64ELb0ELb1EEvPKfS1_S1_S1_S1_S1_Pfllllllllllll15HIP_vector_typeIjLj3EES4_fi
                                        ; -- End function
	.set _Z20gated_delta_net_cudaILi64ELb0ELb1EEvPKfS1_S1_S1_S1_S1_Pfllllllllllll15HIP_vector_typeIjLj3EES4_fi.num_vgpr, 27
	.set _Z20gated_delta_net_cudaILi64ELb0ELb1EEvPKfS1_S1_S1_S1_S1_Pfllllllllllll15HIP_vector_typeIjLj3EES4_fi.num_agpr, 0
	.set _Z20gated_delta_net_cudaILi64ELb0ELb1EEvPKfS1_S1_S1_S1_S1_Pfllllllllllll15HIP_vector_typeIjLj3EES4_fi.numbered_sgpr, 54
	.set _Z20gated_delta_net_cudaILi64ELb0ELb1EEvPKfS1_S1_S1_S1_S1_Pfllllllllllll15HIP_vector_typeIjLj3EES4_fi.num_named_barrier, 0
	.set _Z20gated_delta_net_cudaILi64ELb0ELb1EEvPKfS1_S1_S1_S1_S1_Pfllllllllllll15HIP_vector_typeIjLj3EES4_fi.private_seg_size, 0
	.set _Z20gated_delta_net_cudaILi64ELb0ELb1EEvPKfS1_S1_S1_S1_S1_Pfllllllllllll15HIP_vector_typeIjLj3EES4_fi.uses_vcc, 1
	.set _Z20gated_delta_net_cudaILi64ELb0ELb1EEvPKfS1_S1_S1_S1_S1_Pfllllllllllll15HIP_vector_typeIjLj3EES4_fi.uses_flat_scratch, 0
	.set _Z20gated_delta_net_cudaILi64ELb0ELb1EEvPKfS1_S1_S1_S1_S1_Pfllllllllllll15HIP_vector_typeIjLj3EES4_fi.has_dyn_sized_stack, 0
	.set _Z20gated_delta_net_cudaILi64ELb0ELb1EEvPKfS1_S1_S1_S1_S1_Pfllllllllllll15HIP_vector_typeIjLj3EES4_fi.has_recursion, 0
	.set _Z20gated_delta_net_cudaILi64ELb0ELb1EEvPKfS1_S1_S1_S1_S1_Pfllllllllllll15HIP_vector_typeIjLj3EES4_fi.has_indirect_call, 0
	.section	.AMDGPU.csdata,"",@progbits
; Kernel info:
; codeLenInByte = 1420
; TotalNumSgprs: 56
; NumVgprs: 27
; ScratchSize: 0
; MemoryBound: 0
; FloatMode: 240
; IeeeMode: 1
; LDSByteSize: 0 bytes/workgroup (compile time only)
; SGPRBlocks: 0
; VGPRBlocks: 3
; NumSGPRsForWavesPerEU: 56
; NumVGPRsForWavesPerEU: 27
; Occupancy: 16
; WaveLimiterHint : 1
; COMPUTE_PGM_RSRC2:SCRATCH_EN: 0
; COMPUTE_PGM_RSRC2:USER_SGPR: 6
; COMPUTE_PGM_RSRC2:TRAP_HANDLER: 0
; COMPUTE_PGM_RSRC2:TGID_X_EN: 1
; COMPUTE_PGM_RSRC2:TGID_Y_EN: 1
; COMPUTE_PGM_RSRC2:TGID_Z_EN: 1
; COMPUTE_PGM_RSRC2:TIDIG_COMP_CNT: 1
	.section	.text._Z20gated_delta_net_cudaILi128ELb0ELb1EEvPKfS1_S1_S1_S1_S1_Pfllllllllllll15HIP_vector_typeIjLj3EES4_fi,"axG",@progbits,_Z20gated_delta_net_cudaILi128ELb0ELb1EEvPKfS1_S1_S1_S1_S1_Pfllllllllllll15HIP_vector_typeIjLj3EES4_fi,comdat
	.protected	_Z20gated_delta_net_cudaILi128ELb0ELb1EEvPKfS1_S1_S1_S1_S1_Pfllllllllllll15HIP_vector_typeIjLj3EES4_fi ; -- Begin function _Z20gated_delta_net_cudaILi128ELb0ELb1EEvPKfS1_S1_S1_S1_S1_Pfllllllllllll15HIP_vector_typeIjLj3EES4_fi
	.globl	_Z20gated_delta_net_cudaILi128ELb0ELb1EEvPKfS1_S1_S1_S1_S1_Pfllllllllllll15HIP_vector_typeIjLj3EES4_fi
	.p2align	8
	.type	_Z20gated_delta_net_cudaILi128ELb0ELb1EEvPKfS1_S1_S1_S1_S1_Pfllllllllllll15HIP_vector_typeIjLj3EES4_fi,@function
_Z20gated_delta_net_cudaILi128ELb0ELb1EEvPKfS1_S1_S1_S1_S1_Pfllllllllllll15HIP_vector_typeIjLj3EES4_fi: ; @_Z20gated_delta_net_cudaILi128ELb0ELb1EEvPKfS1_S1_S1_S1_S1_Pfllllllllllll15HIP_vector_typeIjLj3EES4_fi
; %bb.0:
	s_load_dwordx16 s[12:27], s[4:5], 0x40
	s_waitcnt lgkmcnt(0)
	v_cmp_lt_i64_e64 s0, s[12:13], 1
	s_and_b32 vcc_lo, exec_lo, s0
	s_cbranch_vccnz .LBB11_7
; %bb.1:
	s_clause 0x3
	s_load_dwordx16 s[36:51], s[4:5], 0x0
	s_load_dwordx4 s[0:3], s[4:5], 0x98
	s_load_dword s9, s[4:5], 0xa8
	s_load_dword s33, s[4:5], 0xc4
	s_mov_b32 s31, 0
	v_lshlrev_b32_e32 v5, 2, v0
	s_waitcnt lgkmcnt(0)
	s_mul_hi_u32 s0, s0, s6
	s_mul_i32 s11, s51, s7
	s_mul_hi_u32 s28, s50, s7
	s_mul_i32 s34, s50, s7
	s_mul_i32 s10, s50, s14
	s_mul_hi_u32 s52, s50, s14
	s_mul_i32 s53, s51, s14
	s_add_i32 s35, s28, s11
	s_mul_i32 s11, s34, s13
	s_mul_hi_u32 s14, s34, s12
	s_mul_i32 s30, s50, s15
	s_mul_i32 s15, s35, s12
	s_add_i32 s11, s14, s11
	s_mul_i32 s14, s34, s12
	s_add_i32 s11, s11, s15
	s_add_u32 s14, s14, s6
	s_addc_u32 s15, s11, 0
	s_mul_i32 s54, s10, s13
	s_lshl_b64 s[14:15], s[14:15], 9
	s_add_u32 s28, s34, s6
	s_addc_u32 s29, s35, 0
	s_add_i32 s11, s52, s30
	s_mul_hi_u32 s30, s10, s12
	s_add_i32 s11, s11, s53
	s_add_i32 s30, s30, s54
	s_mul_i32 s53, s11, s12
	s_mul_i32 s52, s10, s12
	s_add_i32 s53, s30, s53
	s_mul_hi_u32 s3, s3, s7
	s_lshl_b64 s[52:53], s[52:53], 9
	s_add_u32 s52, s48, s52
	s_addc_u32 s53, s49, s53
	s_add_i32 s0, s6, s0
	s_add_i32 s3, s7, s3
	s_lshr_b32 s30, s0, s1
	s_lshl_b64 s[0:1], s[34:35], 16
	s_mul_i32 s30, s30, s2
	s_lshr_b32 s2, s3, s9
	s_sub_i32 s9, s6, s30
	s_add_u32 s3, s46, s0
	s_addc_u32 s34, s47, s1
	s_lshl_b32 s30, s6, 14
	s_lshl_b64 s[0:1], s[30:31], 2
	s_add_u32 s0, s3, s0
	s_addc_u32 s1, s34, s1
	s_lshr_b32 s3, s33, 16
	v_mad_u64_u32 v[1:2], null, s8, s3, v[1:2]
	s_mul_hi_u32 s3, s16, s9
	v_lshlrev_b32_e32 v3, 7, v1
	v_ashrrev_i32_e32 v4, 31, v3
	v_lshlrev_b64 v[6:7], 2, v[3:4]
	v_or_b32_e32 v3, v3, v0
	v_add_co_u32 v2, vcc_lo, s0, v6
	v_add_co_ci_u32_e64 v4, null, s1, v7, vcc_lo
	s_mul_i32 s0, s21, s2
	v_add_co_u32 v9, vcc_lo, v2, v5
	v_add_co_ci_u32_e64 v10, null, 0, v4, vcc_lo
	s_clause 0x3
	global_load_dword v6, v[9:10], off
	global_load_dword v7, v[9:10], off offset:128
	global_load_dword v8, v[9:10], off offset:256
	;; [unrolled: 1-line block ×3, first 2 shown]
	v_mbcnt_lo_u32_b32 v4, -1, 0
	s_mul_hi_u32 s1, s20, s2
	v_mov_b32_e32 v10, 0
	s_add_i32 s1, s1, s0
	s_mul_i32 s0, s20, s2
	v_xor_b32_e32 v2, 16, v4
	v_xor_b32_e32 v11, 8, v4
	s_lshl_b64 s[0:1], s[0:1], 2
	s_mul_i32 s2, s17, s9
	s_add_u32 s20, s36, s0
	v_cmp_gt_i32_e32 vcc_lo, 32, v2
	v_xor_b32_e32 v13, 4, v4
	s_addc_u32 s17, s37, s1
	s_add_i32 s3, s3, s2
	s_mul_i32 s2, s16, s9
	v_cndmask_b32_e32 v2, v4, v2, vcc_lo
	v_cmp_gt_i32_e32 vcc_lo, 32, v11
	s_lshl_b64 s[2:3], s[2:3], 2
	v_xor_b32_e32 v14, 2, v4
	s_add_u32 s20, s20, s2
	s_addc_u32 s21, s17, s3
	v_cndmask_b32_e32 v12, v4, v11, vcc_lo
	v_cmp_gt_i32_e32 vcc_lo, 32, v13
	s_add_u32 s0, s38, s0
	s_addc_u32 s1, s39, s1
	s_add_u32 s30, s0, s2
	s_mul_i32 s0, s27, s7
	s_mul_hi_u32 s2, s26, s7
	s_load_dwordx2 s[8:9], s[4:5], 0x90
	v_xor_b32_e32 v15, 1, v4
	v_cndmask_b32_e32 v13, v4, v13, vcc_lo
	v_cmp_gt_i32_e32 vcc_lo, 32, v14
	s_addc_u32 s27, s1, s3
	s_add_i32 s17, s2, s0
	s_load_dwordx4 s[0:3], s[4:5], 0x80
	s_mul_i32 s16, s26, s7
	v_cndmask_b32_e32 v14, v4, v14, vcc_lo
	v_cmp_gt_i32_e32 vcc_lo, 32, v15
	s_lshl_b64 s[16:17], s[16:17], 2
	v_lshlrev_b32_e32 v11, 2, v2
	v_ashrrev_i32_e32 v2, 31, v1
	s_add_u32 s26, s40, s16
	v_cndmask_b32_e32 v4, v4, v15, vcc_lo
	s_mul_i32 s16, s23, s6
	s_mul_hi_u32 s23, s22, s6
	s_load_dwordx2 s[4:5], s[4:5], 0xb0
	s_addc_u32 s31, s41, s17
	v_lshlrev_b32_e32 v15, 2, v4
	v_ashrrev_i32_e32 v4, 31, v3
	s_add_i32 s17, s23, s16
	s_mul_i32 s16, s22, s6
	v_lshlrev_b64 v[17:18], 2, v[1:2]
	s_lshl_b64 s[16:17], s[16:17], 2
	s_waitcnt lgkmcnt(0)
	s_mul_i32 s9, s9, s7
	s_mul_hi_u32 s22, s8, s7
	v_lshlrev_b64 v[3:4], 2, v[3:4]
	s_add_u32 s16, s26, s16
	s_mul_i32 s23, s8, s7
	s_mul_i32 s1, s1, s6
	s_mul_hi_u32 s7, s0, s6
	s_addc_u32 s17, s31, s17
	s_add_i32 s22, s22, s9
	s_lshl_b64 s[8:9], s[28:29], 16
	s_add_i32 s26, s7, s1
	s_mul_i32 s31, s0, s6
	s_lshl_b64 s[6:7], s[10:11], 14
	v_add_co_u32 v1, vcc_lo, s16, v17
	s_add_u32 s1, s52, s8
	v_add_co_ci_u32_e64 v2, null, s17, v18, vcc_lo
	v_cmp_eq_u32_e64 s0, 0, v0
	s_addc_u32 s8, s53, s9
	v_add_co_u32 v0, vcc_lo, s1, v3
	s_add_i32 s1, s12, -1
	s_add_u32 s16, s48, s14
	v_add_co_ci_u32_e64 v16, null, s8, v4, vcc_lo
	s_addc_u32 s17, s49, s15
	v_add_co_u32 v3, vcc_lo, s16, v17
	s_lshl_b64 s[8:9], s[50:51], 9
	s_lshl_b64 s[10:11], s[18:19], 2
	v_lshlrev_b32_e32 v12, 2, v12
	v_lshlrev_b32_e32 v13, 2, v13
	;; [unrolled: 1-line block ×3, first 2 shown]
	s_add_u32 s14, s23, s31
	v_add_co_ci_u32_e64 v4, null, s17, v18, vcc_lo
	s_addc_u32 s15, s22, s26
	s_lshl_b64 s[2:3], s[2:3], 2
	s_lshl_b64 s[14:15], s[14:15], 2
	;; [unrolled: 1-line block ×3, first 2 shown]
	s_mov_b64 s[18:19], 0
	s_branch .LBB11_3
.LBB11_2:                               ;   in Loop: Header=BB11_3 Depth=1
	s_add_u32 s18, s18, 1
	s_addc_u32 s19, s19, 0
	v_add_co_u32 v3, vcc_lo, v3, s8
	s_add_i32 s1, s1, -1
	v_cmp_le_i64_e64 s22, s[12:13], s[18:19]
	v_add_co_ci_u32_e64 v4, null, s9, v4, vcc_lo
	s_add_u32 s20, s20, s10
	v_add_co_u32 v1, vcc_lo, v1, s16
	s_addc_u32 s21, s21, s11
	s_add_u32 s14, s14, s2
	v_add_co_ci_u32_e64 v2, null, s17, v2, vcc_lo
	s_addc_u32 s15, s15, s3
	s_add_u32 s30, s30, s10
	s_addc_u32 s27, s27, s11
	s_and_b32 vcc_lo, exec_lo, s22
	s_cbranch_vccnz .LBB11_7
.LBB11_3:                               ; =>This Inner Loop Header: Depth=1
	v_add_co_u32 v17, s22, s30, v5
	s_waitcnt lgkmcnt(0)
	v_add_co_ci_u32_e64 v18, null, s27, 0, s22
	s_add_u32 s22, s44, s14
	s_addc_u32 s23, s45, s15
	s_add_u32 s24, s42, s14
	s_clause 0x3
	global_load_dword v19, v[17:18], off
	global_load_dword v20, v[17:18], off offset:128
	global_load_dword v21, v[17:18], off offset:256
	;; [unrolled: 1-line block ×3, first 2 shown]
	s_addc_u32 s25, s43, s15
	global_load_dword v23, v10, s[24:25]
	global_load_dword v24, v[1:2], off
	global_load_dword v25, v10, s[22:23]
	v_add_co_u32 v17, s22, s20, v5
	v_add_co_ci_u32_e64 v18, null, s21, 0, s22
	s_clause 0x3
	global_load_dword v26, v[17:18], off
	global_load_dword v27, v[17:18], off offset:128
	global_load_dword v28, v[17:18], off offset:256
	;; [unrolled: 1-line block ×3, first 2 shown]
	s_waitcnt vmcnt(14)
	v_mov_b32_e32 v18, v6
	s_waitcnt vmcnt(13)
	v_mov_b32_e32 v29, v7
	;; [unrolled: 2-line block ×4, first 2 shown]
	s_waitcnt vmcnt(10)
	v_fma_f32 v6, v18, v19, 0
	s_waitcnt vmcnt(6)
	v_mul_f32_e32 v8, 0x3fb8aa3b, v23
	v_fmac_f32_e32 v6, v29, v20
	v_cmp_ngt_f32_e32 vcc_lo, 0xc2ce8ed0, v23
	v_fma_f32 v9, 0x3fb8aa3b, v23, -v8
	v_fmac_f32_e32 v6, v30, v21
	v_rndne_f32_e32 v32, v8
	v_fmac_f32_e32 v9, 0x32a5705f, v23
	v_fmac_f32_e32 v6, v31, v22
	v_sub_f32_e32 v8, v8, v32
	ds_bpermute_b32 v7, v11, v6
	v_add_f32_e32 v8, v8, v9
	v_cvt_i32_f32_e32 v9, v32
	s_waitcnt lgkmcnt(0)
	v_add_f32_e32 v6, v6, v7
	ds_bpermute_b32 v7, v12, v6
	s_waitcnt lgkmcnt(0)
	v_add_f32_e32 v6, v6, v7
	ds_bpermute_b32 v7, v13, v6
	;; [unrolled: 3-line block ×3, first 2 shown]
	s_waitcnt lgkmcnt(0)
	v_add_f32_e32 v6, v6, v7
	v_exp_f32_e32 v7, v8
	ds_bpermute_b32 v8, v15, v6
	v_ldexp_f32 v7, v7, v9
	v_cndmask_b32_e32 v7, 0, v7, vcc_lo
	v_cmp_nlt_f32_e32 vcc_lo, 0x42b17218, v23
	v_cndmask_b32_e32 v23, 0x7f800000, v7, vcc_lo
	s_waitcnt lgkmcnt(0)
	v_add_f32_e32 v6, v6, v8
	s_waitcnt vmcnt(5)
	v_fma_f32 v6, -v23, v6, v24
	s_waitcnt vmcnt(4)
	v_mul_f32_e32 v9, v25, v6
	v_mul_f32_e32 v6, v9, v19
	v_mul_f32_e32 v7, v9, v20
	v_mul_f32_e32 v8, v9, v21
	v_mul_f32_e32 v9, v9, v22
	v_fmac_f32_e32 v6, v23, v18
	v_fmac_f32_e32 v7, v23, v29
	;; [unrolled: 1-line block ×4, first 2 shown]
	s_waitcnt vmcnt(3)
	v_fma_f32 v18, v26, v6, 0
	s_waitcnt vmcnt(2)
	v_fmac_f32_e32 v18, v27, v7
	s_waitcnt vmcnt(1)
	v_fmac_f32_e32 v18, v28, v8
	;; [unrolled: 2-line block ×3, first 2 shown]
	ds_bpermute_b32 v17, v11, v18
	s_waitcnt lgkmcnt(0)
	v_add_f32_e32 v17, v18, v17
	ds_bpermute_b32 v18, v12, v17
	s_waitcnt lgkmcnt(0)
	v_add_f32_e32 v17, v17, v18
	;; [unrolled: 3-line block ×4, first 2 shown]
	ds_bpermute_b32 v18, v15, v17
	s_and_saveexec_b32 s22, s0
	s_cbranch_execz .LBB11_5
; %bb.4:                                ;   in Loop: Header=BB11_3 Depth=1
	s_waitcnt lgkmcnt(0)
	v_add_f32_e32 v17, v17, v18
	v_mul_f32_e32 v17, s4, v17
	global_store_dword v[3:4], v17, off
.LBB11_5:                               ;   in Loop: Header=BB11_3 Depth=1
	s_or_b32 exec_lo, exec_lo, s22
	s_cmp_lt_i32 s1, 0
	s_cselect_b32 s22, -1, 0
	s_cmp_ge_i32 s1, s5
	s_cselect_b32 s23, -1, 0
	s_or_b32 s22, s22, s23
	s_and_b32 vcc_lo, exec_lo, s22
	s_cbranch_vccnz .LBB11_2
; %bb.6:                                ;   in Loop: Header=BB11_3 Depth=1
	s_mul_i32 s23, s7, s1
	s_mul_hi_u32 s24, s6, s1
	s_mul_i32 s22, s6, s1
	s_add_i32 s23, s24, s23
	s_lshl_b64 s[22:23], s[22:23], 2
	v_add_co_u32 v17, vcc_lo, v0, s22
	s_waitcnt lgkmcnt(0)
	v_add_co_ci_u32_e64 v18, null, s23, v16, vcc_lo
	global_store_dword v[17:18], v6, off
	global_store_dword v[17:18], v7, off offset:128
	global_store_dword v[17:18], v8, off offset:256
	;; [unrolled: 1-line block ×3, first 2 shown]
	s_branch .LBB11_2
.LBB11_7:
	s_endpgm
	.section	.rodata,"a",@progbits
	.p2align	6, 0x0
	.amdhsa_kernel _Z20gated_delta_net_cudaILi128ELb0ELb1EEvPKfS1_S1_S1_S1_S1_Pfllllllllllll15HIP_vector_typeIjLj3EES4_fi
		.amdhsa_group_segment_fixed_size 0
		.amdhsa_private_segment_fixed_size 0
		.amdhsa_kernarg_size 440
		.amdhsa_user_sgpr_count 6
		.amdhsa_user_sgpr_private_segment_buffer 1
		.amdhsa_user_sgpr_dispatch_ptr 0
		.amdhsa_user_sgpr_queue_ptr 0
		.amdhsa_user_sgpr_kernarg_segment_ptr 1
		.amdhsa_user_sgpr_dispatch_id 0
		.amdhsa_user_sgpr_flat_scratch_init 0
		.amdhsa_user_sgpr_private_segment_size 0
		.amdhsa_wavefront_size32 1
		.amdhsa_uses_dynamic_stack 0
		.amdhsa_system_sgpr_private_segment_wavefront_offset 0
		.amdhsa_system_sgpr_workgroup_id_x 1
		.amdhsa_system_sgpr_workgroup_id_y 1
		.amdhsa_system_sgpr_workgroup_id_z 1
		.amdhsa_system_sgpr_workgroup_info 0
		.amdhsa_system_vgpr_workitem_id 1
		.amdhsa_next_free_vgpr 33
		.amdhsa_next_free_sgpr 55
		.amdhsa_reserve_vcc 1
		.amdhsa_reserve_flat_scratch 0
		.amdhsa_float_round_mode_32 0
		.amdhsa_float_round_mode_16_64 0
		.amdhsa_float_denorm_mode_32 3
		.amdhsa_float_denorm_mode_16_64 3
		.amdhsa_dx10_clamp 1
		.amdhsa_ieee_mode 1
		.amdhsa_fp16_overflow 0
		.amdhsa_workgroup_processor_mode 1
		.amdhsa_memory_ordered 1
		.amdhsa_forward_progress 1
		.amdhsa_shared_vgpr_count 0
		.amdhsa_exception_fp_ieee_invalid_op 0
		.amdhsa_exception_fp_denorm_src 0
		.amdhsa_exception_fp_ieee_div_zero 0
		.amdhsa_exception_fp_ieee_overflow 0
		.amdhsa_exception_fp_ieee_underflow 0
		.amdhsa_exception_fp_ieee_inexact 0
		.amdhsa_exception_int_div_zero 0
	.end_amdhsa_kernel
	.section	.text._Z20gated_delta_net_cudaILi128ELb0ELb1EEvPKfS1_S1_S1_S1_S1_Pfllllllllllll15HIP_vector_typeIjLj3EES4_fi,"axG",@progbits,_Z20gated_delta_net_cudaILi128ELb0ELb1EEvPKfS1_S1_S1_S1_S1_Pfllllllllllll15HIP_vector_typeIjLj3EES4_fi,comdat
.Lfunc_end11:
	.size	_Z20gated_delta_net_cudaILi128ELb0ELb1EEvPKfS1_S1_S1_S1_S1_Pfllllllllllll15HIP_vector_typeIjLj3EES4_fi, .Lfunc_end11-_Z20gated_delta_net_cudaILi128ELb0ELb1EEvPKfS1_S1_S1_S1_S1_Pfllllllllllll15HIP_vector_typeIjLj3EES4_fi
                                        ; -- End function
	.set _Z20gated_delta_net_cudaILi128ELb0ELb1EEvPKfS1_S1_S1_S1_S1_Pfllllllllllll15HIP_vector_typeIjLj3EES4_fi.num_vgpr, 33
	.set _Z20gated_delta_net_cudaILi128ELb0ELb1EEvPKfS1_S1_S1_S1_S1_Pfllllllllllll15HIP_vector_typeIjLj3EES4_fi.num_agpr, 0
	.set _Z20gated_delta_net_cudaILi128ELb0ELb1EEvPKfS1_S1_S1_S1_S1_Pfllllllllllll15HIP_vector_typeIjLj3EES4_fi.numbered_sgpr, 55
	.set _Z20gated_delta_net_cudaILi128ELb0ELb1EEvPKfS1_S1_S1_S1_S1_Pfllllllllllll15HIP_vector_typeIjLj3EES4_fi.num_named_barrier, 0
	.set _Z20gated_delta_net_cudaILi128ELb0ELb1EEvPKfS1_S1_S1_S1_S1_Pfllllllllllll15HIP_vector_typeIjLj3EES4_fi.private_seg_size, 0
	.set _Z20gated_delta_net_cudaILi128ELb0ELb1EEvPKfS1_S1_S1_S1_S1_Pfllllllllllll15HIP_vector_typeIjLj3EES4_fi.uses_vcc, 1
	.set _Z20gated_delta_net_cudaILi128ELb0ELb1EEvPKfS1_S1_S1_S1_S1_Pfllllllllllll15HIP_vector_typeIjLj3EES4_fi.uses_flat_scratch, 0
	.set _Z20gated_delta_net_cudaILi128ELb0ELb1EEvPKfS1_S1_S1_S1_S1_Pfllllllllllll15HIP_vector_typeIjLj3EES4_fi.has_dyn_sized_stack, 0
	.set _Z20gated_delta_net_cudaILi128ELb0ELb1EEvPKfS1_S1_S1_S1_S1_Pfllllllllllll15HIP_vector_typeIjLj3EES4_fi.has_recursion, 0
	.set _Z20gated_delta_net_cudaILi128ELb0ELb1EEvPKfS1_S1_S1_S1_S1_Pfllllllllllll15HIP_vector_typeIjLj3EES4_fi.has_indirect_call, 0
	.section	.AMDGPU.csdata,"",@progbits
; Kernel info:
; codeLenInByte = 1536
; TotalNumSgprs: 57
; NumVgprs: 33
; ScratchSize: 0
; MemoryBound: 0
; FloatMode: 240
; IeeeMode: 1
; LDSByteSize: 0 bytes/workgroup (compile time only)
; SGPRBlocks: 0
; VGPRBlocks: 4
; NumSGPRsForWavesPerEU: 57
; NumVGPRsForWavesPerEU: 33
; Occupancy: 16
; WaveLimiterHint : 1
; COMPUTE_PGM_RSRC2:SCRATCH_EN: 0
; COMPUTE_PGM_RSRC2:USER_SGPR: 6
; COMPUTE_PGM_RSRC2:TRAP_HANDLER: 0
; COMPUTE_PGM_RSRC2:TGID_X_EN: 1
; COMPUTE_PGM_RSRC2:TGID_Y_EN: 1
; COMPUTE_PGM_RSRC2:TGID_Z_EN: 1
; COMPUTE_PGM_RSRC2:TIDIG_COMP_CNT: 1
	.section	.text._Z20gated_delta_net_cudaILi16ELb0ELb0EEvPKfS1_S1_S1_S1_S1_Pfllllllllllll15HIP_vector_typeIjLj3EES4_fi,"axG",@progbits,_Z20gated_delta_net_cudaILi16ELb0ELb0EEvPKfS1_S1_S1_S1_S1_Pfllllllllllll15HIP_vector_typeIjLj3EES4_fi,comdat
	.protected	_Z20gated_delta_net_cudaILi16ELb0ELb0EEvPKfS1_S1_S1_S1_S1_Pfllllllllllll15HIP_vector_typeIjLj3EES4_fi ; -- Begin function _Z20gated_delta_net_cudaILi16ELb0ELb0EEvPKfS1_S1_S1_S1_S1_Pfllllllllllll15HIP_vector_typeIjLj3EES4_fi
	.globl	_Z20gated_delta_net_cudaILi16ELb0ELb0EEvPKfS1_S1_S1_S1_S1_Pfllllllllllll15HIP_vector_typeIjLj3EES4_fi
	.p2align	8
	.type	_Z20gated_delta_net_cudaILi16ELb0ELb0EEvPKfS1_S1_S1_S1_S1_Pfllllllllllll15HIP_vector_typeIjLj3EES4_fi,@function
_Z20gated_delta_net_cudaILi16ELb0ELb0EEvPKfS1_S1_S1_S1_S1_Pfllllllllllll15HIP_vector_typeIjLj3EES4_fi: ; @_Z20gated_delta_net_cudaILi16ELb0ELb0EEvPKfS1_S1_S1_S1_S1_Pfllllllllllll15HIP_vector_typeIjLj3EES4_fi
; %bb.0:
	s_clause 0x1
	s_load_dword s0, s[4:5], 0xc4
	s_load_dwordx16 s[12:27], s[4:5], 0x0
	s_mov_b32 s1, 0
	v_lshlrev_b32_e32 v5, 2, v0
	s_load_dwordx16 s[36:51], s[4:5], 0x40
	s_waitcnt lgkmcnt(0)
	s_lshr_b32 s0, s0, 16
	s_mul_hi_u32 s2, s26, s7
	v_mad_u64_u32 v[3:4], null, s8, s0, v[1:2]
	s_mul_i32 s0, s27, s7
	s_mul_i32 s28, s26, s7
	s_add_i32 s29, s2, s0
	s_lshl_b32 s0, s6, 8
	s_lshl_b64 s[2:3], s[28:29], 10
	s_add_u32 s2, s22, s2
	v_lshlrev_b32_e32 v1, 4, v3
	s_addc_u32 s3, s23, s3
	s_lshl_b64 s[0:1], s[0:1], 2
	s_add_u32 s0, s2, s0
	v_ashrrev_i32_e32 v2, 31, v1
	s_addc_u32 s1, s3, s1
	v_lshlrev_b64 v[6:7], 2, v[1:2]
	v_add_co_u32 v2, vcc_lo, s0, v6
	v_add_co_ci_u32_e64 v4, null, s1, v7, vcc_lo
	v_cmp_lt_i64_e64 s0, s[36:37], 1
	v_add_co_u32 v6, vcc_lo, v2, v5
	v_add_co_ci_u32_e64 v7, null, 0, v4, vcc_lo
	s_and_b32 vcc_lo, exec_lo, s0
	global_load_dword v6, v[6:7], off
	v_mov_b32_e32 v7, 0
	s_cbranch_vccnz .LBB12_5
; %bb.1:
	v_mbcnt_lo_u32_b32 v2, -1, 0
	s_clause 0x4
	s_load_dwordx4 s[8:11], s[4:5], 0x98
	s_load_dwordx4 s[0:3], s[4:5], 0x80
	s_load_dwordx2 s[34:35], s[4:5], 0x90
	s_load_dword s31, s[4:5], 0xa8
	s_load_dword s30, s[4:5], 0xb0
	s_mul_i32 s5, s28, s37
	s_mul_hi_u32 s22, s28, s36
	s_mul_i32 s23, s29, s36
	v_and_b32_e32 v4, 16, v2
	v_xor_b32_e32 v9, 4, v2
	v_xor_b32_e32 v10, 2, v2
	s_add_i32 s5, s22, s5
	s_mul_i32 s33, s28, s36
	v_add_nc_u32_e32 v8, 16, v4
	v_xor_b32_e32 v4, 8, v2
	s_add_i32 s5, s5, s23
	s_add_u32 s22, s33, s6
	s_addc_u32 s23, s5, 0
	v_xor_b32_e32 v12, 1, v2
	v_cmp_lt_i32_e32 vcc_lo, v4, v8
	s_waitcnt lgkmcnt(0)
	s_mul_hi_u32 s8, s8, s6
	s_mul_i32 s51, s51, s7
	s_add_i32 s8, s6, s8
	s_mul_hi_u32 s52, s50, s7
	v_cndmask_b32_e32 v11, v2, v4, vcc_lo
	v_cmp_lt_i32_e32 vcc_lo, v9, v8
	s_mul_hi_u32 s11, s11, s7
	s_lshr_b32 s8, s8, s9
	s_mul_i32 s4, s50, s7
	s_add_i32 s5, s52, s51
	v_cndmask_b32_e32 v9, v2, v9, vcc_lo
	v_cmp_lt_i32_e32 vcc_lo, v10, v8
	s_add_i32 s9, s7, s11
	s_mul_i32 s8, s8, s10
	v_ashrrev_i32_e32 v4, 31, v3
	s_lshl_b64 s[4:5], s[4:5], 2
	v_cndmask_b32_e32 v10, v2, v10, vcc_lo
	v_cmp_lt_i32_e32 vcc_lo, v12, v8
	s_mul_i32 s47, s47, s6
	s_mul_hi_u32 s50, s46, s6
	s_lshl_b64 s[22:23], s[22:23], 6
	s_lshr_b32 s9, s9, s31
	s_sub_i32 s8, s6, s8
	s_add_u32 s10, s16, s4
	s_addc_u32 s11, s17, s5
	s_add_i32 s5, s50, s47
	s_mul_i32 s4, s46, s6
	v_lshlrev_b64 v[14:15], 2, v[3:4]
	s_lshl_b64 s[4:5], s[4:5], 2
	v_cndmask_b32_e32 v2, v2, v12, vcc_lo
	s_add_u32 s4, s10, s4
	s_addc_u32 s5, s11, s5
	s_mul_i32 s10, s35, s7
	s_mul_hi_u32 s11, s34, s7
	s_mul_i32 s1, s1, s6
	s_add_i32 s11, s11, s10
	s_mul_hi_u32 s10, s0, s6
	v_lshlrev_b32_e32 v8, 2, v11
	v_lshlrev_b32_e32 v11, 2, v2
	v_add_co_u32 v2, vcc_lo, s4, v14
	s_add_i32 s16, s10, s1
	s_mul_i32 s10, s0, s6
	s_mul_i32 s0, s45, s9
	s_mul_hi_u32 s1, s44, s9
	v_add_co_ci_u32_e64 v3, null, s5, v15, vcc_lo
	s_mul_i32 s4, s41, s8
	s_mul_hi_u32 s5, s40, s8
	s_add_i32 s1, s1, s0
	s_mul_i32 s0, s44, s9
	s_add_i32 s5, s5, s4
	s_mul_i32 s4, s40, s8
	s_lshl_b64 s[8:9], s[0:1], 2
	s_lshl_b64 s[4:5], s[4:5], 2
	s_mul_i32 s7, s34, s7
	s_add_u32 s1, s8, s4
	s_addc_u32 s17, s9, s5
	s_lshl_b64 s[4:5], s[42:43], 2
	s_lshl_b64 s[8:9], s[48:49], 2
	s_add_u32 s10, s7, s10
	s_addc_u32 s11, s11, s16
	v_add_co_u32 v12, s1, s1, v5
	s_lshl_b64 s[10:11], s[10:11], 2
	s_lshl_b64 s[2:3], s[2:3], 2
	v_add_co_ci_u32_e64 v13, null, s17, 0, s1
	s_add_u32 s1, s24, s22
	s_addc_u32 s7, s25, s23
	v_add_co_u32 v4, vcc_lo, s1, v14
	v_lshlrev_b32_e32 v9, 2, v9
	v_lshlrev_b32_e32 v10, 2, v10
	v_cmp_eq_u32_e64 s0, 0, v0
	v_add_co_ci_u32_e64 v5, null, s7, v15, vcc_lo
	s_lshl_b64 s[16:17], s[26:27], 6
	s_mov_b64 s[22:23], 0
	s_branch .LBB12_3
.LBB12_2:                               ;   in Loop: Header=BB12_3 Depth=1
	s_or_b32 exec_lo, exec_lo, s1
	s_add_u32 s22, s22, 1
	v_add_co_u32 v12, vcc_lo, v12, s4
	s_addc_u32 s23, s23, 0
	v_add_co_ci_u32_e64 v13, null, s5, v13, vcc_lo
	v_add_co_u32 v2, vcc_lo, v2, s8
	v_cmp_le_i64_e64 s1, s[36:37], s[22:23]
	v_add_co_ci_u32_e64 v3, null, s9, v3, vcc_lo
	v_add_co_u32 v4, vcc_lo, v4, s16
	v_add_co_ci_u32_e64 v5, null, s17, v5, vcc_lo
	s_add_u32 s10, s10, s2
	s_addc_u32 s11, s11, s3
	s_and_b32 vcc_lo, exec_lo, s1
	s_cbranch_vccnz .LBB12_5
.LBB12_3:                               ; =>This Inner Loop Header: Depth=1
	v_add_co_u32 v14, vcc_lo, s14, v12
	s_waitcnt lgkmcnt(0)
	v_add_co_ci_u32_e64 v15, null, s15, v13, vcc_lo
	s_add_u32 s34, s20, s10
	s_addc_u32 s35, s21, s11
	s_add_u32 s40, s18, s10
	global_load_dword v16, v[14:15], off
	s_addc_u32 s41, s19, s11
	global_load_dword v17, v7, s[40:41]
	global_load_dword v18, v[2:3], off
	global_load_dword v19, v7, s[34:35]
	v_add_co_u32 v14, vcc_lo, s12, v12
	v_add_co_ci_u32_e64 v15, null, s13, v13, vcc_lo
	global_load_dword v14, v[14:15], off
	s_waitcnt vmcnt(4)
	v_fma_f32 v15, v6, v16, 0
	s_waitcnt vmcnt(3)
	v_mul_f32_e32 v21, 0x3fb8aa3b, v17
	v_cmp_ngt_f32_e32 vcc_lo, 0xc2ce8ed0, v17
	ds_bpermute_b32 v20, v8, v15
	v_fma_f32 v22, 0x3fb8aa3b, v17, -v21
	v_rndne_f32_e32 v23, v21
	v_fmac_f32_e32 v22, 0x32a5705f, v17
	v_sub_f32_e32 v21, v21, v23
	v_add_f32_e32 v21, v21, v22
	v_cvt_i32_f32_e32 v22, v23
	s_waitcnt lgkmcnt(0)
	v_add_f32_e32 v15, v15, v20
	ds_bpermute_b32 v20, v9, v15
	s_waitcnt lgkmcnt(0)
	v_add_f32_e32 v15, v15, v20
	ds_bpermute_b32 v20, v10, v15
	s_waitcnt lgkmcnt(0)
	v_add_f32_e32 v15, v15, v20
	v_exp_f32_e32 v20, v21
	ds_bpermute_b32 v21, v11, v15
	v_ldexp_f32 v20, v20, v22
	v_cndmask_b32_e32 v20, 0, v20, vcc_lo
	v_cmp_nlt_f32_e32 vcc_lo, 0x42b17218, v17
	v_cndmask_b32_e32 v17, 0x7f800000, v20, vcc_lo
	s_waitcnt lgkmcnt(0)
	v_add_f32_e32 v15, v15, v21
	v_mul_f32_e32 v6, v17, v6
	s_waitcnt vmcnt(2)
	v_fma_f32 v15, -v17, v15, v18
	s_waitcnt vmcnt(1)
	v_mul_f32_e32 v15, v19, v15
	v_fmac_f32_e32 v6, v16, v15
	s_waitcnt vmcnt(0)
	v_fma_f32 v14, v14, v6, 0
	ds_bpermute_b32 v15, v8, v14
	s_waitcnt lgkmcnt(0)
	v_add_f32_e32 v14, v14, v15
	ds_bpermute_b32 v15, v9, v14
	s_waitcnt lgkmcnt(0)
	v_add_f32_e32 v14, v14, v15
	;; [unrolled: 3-line block ×3, first 2 shown]
	ds_bpermute_b32 v15, v11, v14
	s_and_saveexec_b32 s1, s0
	s_cbranch_execz .LBB12_2
; %bb.4:                                ;   in Loop: Header=BB12_3 Depth=1
	s_waitcnt lgkmcnt(0)
	v_add_f32_e32 v14, v14, v15
	v_mul_f32_e32 v14, s30, v14
	global_store_dword v[4:5], v14, off
	s_branch .LBB12_2
.LBB12_5:
	s_mul_i32 s0, s26, s37
	s_mul_hi_u32 s1, s26, s36
	s_mul_i32 s2, s26, s36
	s_add_i32 s0, s1, s0
	s_mul_i32 s1, s27, s36
	s_mul_i32 s3, s2, s39
	s_mul_hi_u32 s4, s2, s38
	s_add_i32 s0, s0, s1
	v_add_nc_u32_e32 v0, v1, v0
	s_add_i32 s1, s4, s3
	s_mul_i32 s0, s0, s38
	s_add_i32 s1, s1, s0
	s_mul_i32 s0, s2, s38
	v_ashrrev_i32_e32 v1, 31, v0
	s_lshl_b64 s[0:1], s[0:1], 6
	s_add_u32 s2, s24, s0
	s_addc_u32 s3, s25, s1
	s_add_u32 s0, s28, s6
	s_addc_u32 s1, s29, 0
	v_lshlrev_b64 v[0:1], 2, v[0:1]
	s_lshl_b64 s[0:1], s[0:1], 10
	s_add_u32 s0, s2, s0
	s_addc_u32 s1, s3, s1
	v_add_co_u32 v0, vcc_lo, s0, v0
	v_add_co_ci_u32_e64 v1, null, s1, v1, vcc_lo
	s_waitcnt vmcnt(0)
	global_store_dword v[0:1], v6, off
	s_endpgm
	.section	.rodata,"a",@progbits
	.p2align	6, 0x0
	.amdhsa_kernel _Z20gated_delta_net_cudaILi16ELb0ELb0EEvPKfS1_S1_S1_S1_S1_Pfllllllllllll15HIP_vector_typeIjLj3EES4_fi
		.amdhsa_group_segment_fixed_size 0
		.amdhsa_private_segment_fixed_size 0
		.amdhsa_kernarg_size 440
		.amdhsa_user_sgpr_count 6
		.amdhsa_user_sgpr_private_segment_buffer 1
		.amdhsa_user_sgpr_dispatch_ptr 0
		.amdhsa_user_sgpr_queue_ptr 0
		.amdhsa_user_sgpr_kernarg_segment_ptr 1
		.amdhsa_user_sgpr_dispatch_id 0
		.amdhsa_user_sgpr_flat_scratch_init 0
		.amdhsa_user_sgpr_private_segment_size 0
		.amdhsa_wavefront_size32 1
		.amdhsa_uses_dynamic_stack 0
		.amdhsa_system_sgpr_private_segment_wavefront_offset 0
		.amdhsa_system_sgpr_workgroup_id_x 1
		.amdhsa_system_sgpr_workgroup_id_y 1
		.amdhsa_system_sgpr_workgroup_id_z 1
		.amdhsa_system_sgpr_workgroup_info 0
		.amdhsa_system_vgpr_workitem_id 1
		.amdhsa_next_free_vgpr 24
		.amdhsa_next_free_sgpr 53
		.amdhsa_reserve_vcc 1
		.amdhsa_reserve_flat_scratch 0
		.amdhsa_float_round_mode_32 0
		.amdhsa_float_round_mode_16_64 0
		.amdhsa_float_denorm_mode_32 3
		.amdhsa_float_denorm_mode_16_64 3
		.amdhsa_dx10_clamp 1
		.amdhsa_ieee_mode 1
		.amdhsa_fp16_overflow 0
		.amdhsa_workgroup_processor_mode 1
		.amdhsa_memory_ordered 1
		.amdhsa_forward_progress 1
		.amdhsa_shared_vgpr_count 0
		.amdhsa_exception_fp_ieee_invalid_op 0
		.amdhsa_exception_fp_denorm_src 0
		.amdhsa_exception_fp_ieee_div_zero 0
		.amdhsa_exception_fp_ieee_overflow 0
		.amdhsa_exception_fp_ieee_underflow 0
		.amdhsa_exception_fp_ieee_inexact 0
		.amdhsa_exception_int_div_zero 0
	.end_amdhsa_kernel
	.section	.text._Z20gated_delta_net_cudaILi16ELb0ELb0EEvPKfS1_S1_S1_S1_S1_Pfllllllllllll15HIP_vector_typeIjLj3EES4_fi,"axG",@progbits,_Z20gated_delta_net_cudaILi16ELb0ELb0EEvPKfS1_S1_S1_S1_S1_Pfllllllllllll15HIP_vector_typeIjLj3EES4_fi,comdat
.Lfunc_end12:
	.size	_Z20gated_delta_net_cudaILi16ELb0ELb0EEvPKfS1_S1_S1_S1_S1_Pfllllllllllll15HIP_vector_typeIjLj3EES4_fi, .Lfunc_end12-_Z20gated_delta_net_cudaILi16ELb0ELb0EEvPKfS1_S1_S1_S1_S1_Pfllllllllllll15HIP_vector_typeIjLj3EES4_fi
                                        ; -- End function
	.set _Z20gated_delta_net_cudaILi16ELb0ELb0EEvPKfS1_S1_S1_S1_S1_Pfllllllllllll15HIP_vector_typeIjLj3EES4_fi.num_vgpr, 24
	.set _Z20gated_delta_net_cudaILi16ELb0ELb0EEvPKfS1_S1_S1_S1_S1_Pfllllllllllll15HIP_vector_typeIjLj3EES4_fi.num_agpr, 0
	.set _Z20gated_delta_net_cudaILi16ELb0ELb0EEvPKfS1_S1_S1_S1_S1_Pfllllllllllll15HIP_vector_typeIjLj3EES4_fi.numbered_sgpr, 53
	.set _Z20gated_delta_net_cudaILi16ELb0ELb0EEvPKfS1_S1_S1_S1_S1_Pfllllllllllll15HIP_vector_typeIjLj3EES4_fi.num_named_barrier, 0
	.set _Z20gated_delta_net_cudaILi16ELb0ELb0EEvPKfS1_S1_S1_S1_S1_Pfllllllllllll15HIP_vector_typeIjLj3EES4_fi.private_seg_size, 0
	.set _Z20gated_delta_net_cudaILi16ELb0ELb0EEvPKfS1_S1_S1_S1_S1_Pfllllllllllll15HIP_vector_typeIjLj3EES4_fi.uses_vcc, 1
	.set _Z20gated_delta_net_cudaILi16ELb0ELb0EEvPKfS1_S1_S1_S1_S1_Pfllllllllllll15HIP_vector_typeIjLj3EES4_fi.uses_flat_scratch, 0
	.set _Z20gated_delta_net_cudaILi16ELb0ELb0EEvPKfS1_S1_S1_S1_S1_Pfllllllllllll15HIP_vector_typeIjLj3EES4_fi.has_dyn_sized_stack, 0
	.set _Z20gated_delta_net_cudaILi16ELb0ELb0EEvPKfS1_S1_S1_S1_S1_Pfllllllllllll15HIP_vector_typeIjLj3EES4_fi.has_recursion, 0
	.set _Z20gated_delta_net_cudaILi16ELb0ELb0EEvPKfS1_S1_S1_S1_S1_Pfllllllllllll15HIP_vector_typeIjLj3EES4_fi.has_indirect_call, 0
	.section	.AMDGPU.csdata,"",@progbits
; Kernel info:
; codeLenInByte = 1212
; TotalNumSgprs: 55
; NumVgprs: 24
; ScratchSize: 0
; MemoryBound: 0
; FloatMode: 240
; IeeeMode: 1
; LDSByteSize: 0 bytes/workgroup (compile time only)
; SGPRBlocks: 0
; VGPRBlocks: 2
; NumSGPRsForWavesPerEU: 55
; NumVGPRsForWavesPerEU: 24
; Occupancy: 16
; WaveLimiterHint : 0
; COMPUTE_PGM_RSRC2:SCRATCH_EN: 0
; COMPUTE_PGM_RSRC2:USER_SGPR: 6
; COMPUTE_PGM_RSRC2:TRAP_HANDLER: 0
; COMPUTE_PGM_RSRC2:TGID_X_EN: 1
; COMPUTE_PGM_RSRC2:TGID_Y_EN: 1
; COMPUTE_PGM_RSRC2:TGID_Z_EN: 1
; COMPUTE_PGM_RSRC2:TIDIG_COMP_CNT: 1
	.section	.text._Z20gated_delta_net_cudaILi32ELb0ELb0EEvPKfS1_S1_S1_S1_S1_Pfllllllllllll15HIP_vector_typeIjLj3EES4_fi,"axG",@progbits,_Z20gated_delta_net_cudaILi32ELb0ELb0EEvPKfS1_S1_S1_S1_S1_Pfllllllllllll15HIP_vector_typeIjLj3EES4_fi,comdat
	.protected	_Z20gated_delta_net_cudaILi32ELb0ELb0EEvPKfS1_S1_S1_S1_S1_Pfllllllllllll15HIP_vector_typeIjLj3EES4_fi ; -- Begin function _Z20gated_delta_net_cudaILi32ELb0ELb0EEvPKfS1_S1_S1_S1_S1_Pfllllllllllll15HIP_vector_typeIjLj3EES4_fi
	.globl	_Z20gated_delta_net_cudaILi32ELb0ELb0EEvPKfS1_S1_S1_S1_S1_Pfllllllllllll15HIP_vector_typeIjLj3EES4_fi
	.p2align	8
	.type	_Z20gated_delta_net_cudaILi32ELb0ELb0EEvPKfS1_S1_S1_S1_S1_Pfllllllllllll15HIP_vector_typeIjLj3EES4_fi,@function
_Z20gated_delta_net_cudaILi32ELb0ELb0EEvPKfS1_S1_S1_S1_S1_Pfllllllllllll15HIP_vector_typeIjLj3EES4_fi: ; @_Z20gated_delta_net_cudaILi32ELb0ELb0EEvPKfS1_S1_S1_S1_S1_Pfllllllllllll15HIP_vector_typeIjLj3EES4_fi
; %bb.0:
	s_clause 0x1
	s_load_dword s0, s[4:5], 0xc4
	s_load_dwordx16 s[12:27], s[4:5], 0x0
	s_mov_b32 s1, 0
	v_lshlrev_b32_e32 v5, 2, v0
	s_load_dwordx16 s[36:51], s[4:5], 0x40
	s_waitcnt lgkmcnt(0)
	s_lshr_b32 s0, s0, 16
	s_mul_hi_u32 s2, s26, s7
	v_mad_u64_u32 v[3:4], null, s8, s0, v[1:2]
	s_mul_i32 s0, s27, s7
	s_mul_i32 s28, s26, s7
	s_add_i32 s29, s2, s0
	s_lshl_b32 s0, s6, 10
	s_lshl_b64 s[2:3], s[28:29], 12
	s_add_u32 s2, s22, s2
	v_lshlrev_b32_e32 v1, 5, v3
	s_addc_u32 s3, s23, s3
	s_lshl_b64 s[0:1], s[0:1], 2
	s_add_u32 s0, s2, s0
	v_ashrrev_i32_e32 v2, 31, v1
	s_addc_u32 s1, s3, s1
	v_lshlrev_b64 v[6:7], 2, v[1:2]
	v_add_co_u32 v2, vcc_lo, s0, v6
	v_add_co_ci_u32_e64 v4, null, s1, v7, vcc_lo
	v_cmp_lt_i64_e64 s0, s[36:37], 1
	v_add_co_u32 v6, vcc_lo, v2, v5
	v_add_co_ci_u32_e64 v7, null, 0, v4, vcc_lo
	s_and_b32 vcc_lo, exec_lo, s0
	global_load_dword v6, v[6:7], off
	v_mov_b32_e32 v7, 0
	s_cbranch_vccnz .LBB13_5
; %bb.1:
	v_mbcnt_lo_u32_b32 v2, -1, 0
	s_clause 0x4
	s_load_dwordx4 s[8:11], s[4:5], 0x98
	s_load_dwordx4 s[0:3], s[4:5], 0x80
	s_load_dwordx2 s[34:35], s[4:5], 0x90
	s_load_dword s31, s[4:5], 0xa8
	s_load_dword s30, s[4:5], 0xb0
	s_mul_i32 s5, s28, s37
	s_mul_hi_u32 s22, s28, s36
	s_mul_i32 s23, s29, s36
	v_xor_b32_e32 v4, 16, v2
	v_xor_b32_e32 v9, 8, v2
	;; [unrolled: 1-line block ×3, first 2 shown]
	s_add_i32 s5, s22, s5
	s_mul_i32 s33, s28, s36
	v_cmp_gt_i32_e32 vcc_lo, 32, v4
	s_add_i32 s5, s5, s23
	s_add_u32 s22, s33, s6
	v_xor_b32_e32 v11, 1, v2
	s_addc_u32 s23, s5, 0
	v_cndmask_b32_e32 v4, v2, v4, vcc_lo
	v_cmp_gt_i32_e32 vcc_lo, 32, v9
	s_waitcnt lgkmcnt(0)
	s_mul_hi_u32 s8, s8, s6
	s_mul_i32 s51, s51, s7
	s_add_i32 s8, s6, s8
	v_lshlrev_b32_e32 v8, 2, v4
	v_xor_b32_e32 v4, 4, v2
	v_cndmask_b32_e32 v9, v2, v9, vcc_lo
	s_mul_hi_u32 s52, s50, s7
	s_mul_hi_u32 s11, s11, s7
	s_lshr_b32 s8, s8, s9
	v_cmp_gt_i32_e32 vcc_lo, 32, v4
	s_mul_i32 s4, s50, s7
	s_add_i32 s5, s52, s51
	s_add_i32 s9, s7, s11
	s_mul_i32 s8, s8, s10
	v_cndmask_b32_e32 v12, v2, v4, vcc_lo
	v_cmp_gt_i32_e32 vcc_lo, 32, v10
	v_ashrrev_i32_e32 v4, 31, v3
	s_lshl_b64 s[4:5], s[4:5], 2
	s_mul_i32 s47, s47, s6
	s_mul_hi_u32 s50, s46, s6
	v_cndmask_b32_e32 v13, v2, v10, vcc_lo
	v_cmp_gt_i32_e32 vcc_lo, 32, v11
	s_lshl_b64 s[22:23], s[22:23], 7
	s_lshr_b32 s9, s9, s31
	s_sub_i32 s8, s6, s8
	s_add_u32 s10, s16, s4
	s_addc_u32 s11, s17, s5
	s_add_i32 s5, s50, s47
	s_mul_i32 s4, s46, s6
	v_lshlrev_b64 v[15:16], 2, v[3:4]
	v_cndmask_b32_e32 v2, v2, v11, vcc_lo
	s_lshl_b64 s[4:5], s[4:5], 2
	s_mul_hi_u32 s16, s34, s7
	s_add_u32 s4, s10, s4
	s_mul_i32 s10, s35, s7
	s_addc_u32 s5, s11, s5
	s_add_i32 s16, s16, s10
	s_mul_i32 s1, s1, s6
	s_mul_hi_u32 s10, s0, s6
	v_lshlrev_b32_e32 v10, 2, v12
	v_lshlrev_b32_e32 v12, 2, v2
	v_add_co_u32 v2, vcc_lo, s4, v15
	s_add_i32 s11, s10, s1
	s_mul_i32 s10, s0, s6
	s_mul_i32 s0, s45, s9
	s_mul_hi_u32 s1, s44, s9
	v_add_co_ci_u32_e64 v3, null, s5, v16, vcc_lo
	s_mul_i32 s4, s41, s8
	s_mul_hi_u32 s5, s40, s8
	s_add_i32 s1, s1, s0
	s_mul_i32 s0, s44, s9
	s_add_i32 s5, s5, s4
	s_mul_i32 s4, s40, s8
	s_lshl_b64 s[8:9], s[0:1], 2
	s_lshl_b64 s[4:5], s[4:5], 2
	s_mul_i32 s7, s34, s7
	s_add_u32 s1, s8, s4
	s_addc_u32 s17, s9, s5
	s_lshl_b64 s[4:5], s[42:43], 2
	s_lshl_b64 s[8:9], s[48:49], 2
	s_add_u32 s10, s7, s10
	s_addc_u32 s11, s16, s11
	v_lshlrev_b32_e32 v11, 2, v13
	v_add_co_u32 v13, s1, s1, v5
	s_lshl_b64 s[10:11], s[10:11], 2
	s_lshl_b64 s[2:3], s[2:3], 2
	v_add_co_ci_u32_e64 v14, null, s17, 0, s1
	s_add_u32 s1, s24, s22
	s_addc_u32 s7, s25, s23
	v_add_co_u32 v4, vcc_lo, s1, v15
	v_lshlrev_b32_e32 v9, 2, v9
	v_cmp_eq_u32_e64 s0, 0, v0
	v_add_co_ci_u32_e64 v5, null, s7, v16, vcc_lo
	s_lshl_b64 s[16:17], s[26:27], 7
	s_mov_b64 s[22:23], 0
	s_branch .LBB13_3
.LBB13_2:                               ;   in Loop: Header=BB13_3 Depth=1
	s_or_b32 exec_lo, exec_lo, s1
	s_add_u32 s22, s22, 1
	v_add_co_u32 v13, vcc_lo, v13, s4
	s_addc_u32 s23, s23, 0
	v_add_co_ci_u32_e64 v14, null, s5, v14, vcc_lo
	v_add_co_u32 v2, vcc_lo, v2, s8
	v_cmp_le_i64_e64 s1, s[36:37], s[22:23]
	v_add_co_ci_u32_e64 v3, null, s9, v3, vcc_lo
	v_add_co_u32 v4, vcc_lo, v4, s16
	v_add_co_ci_u32_e64 v5, null, s17, v5, vcc_lo
	s_add_u32 s10, s10, s2
	s_addc_u32 s11, s11, s3
	s_and_b32 vcc_lo, exec_lo, s1
	s_cbranch_vccnz .LBB13_5
.LBB13_3:                               ; =>This Inner Loop Header: Depth=1
	v_add_co_u32 v15, vcc_lo, s14, v13
	s_waitcnt lgkmcnt(0)
	v_add_co_ci_u32_e64 v16, null, s15, v14, vcc_lo
	s_add_u32 s34, s20, s10
	s_addc_u32 s35, s21, s11
	s_add_u32 s40, s18, s10
	global_load_dword v17, v[15:16], off
	s_addc_u32 s41, s19, s11
	global_load_dword v18, v7, s[40:41]
	global_load_dword v19, v[2:3], off
	global_load_dword v20, v7, s[34:35]
	v_add_co_u32 v15, vcc_lo, s12, v13
	v_add_co_ci_u32_e64 v16, null, s13, v14, vcc_lo
	global_load_dword v15, v[15:16], off
	s_waitcnt vmcnt(4)
	v_fma_f32 v16, v6, v17, 0
	s_waitcnt vmcnt(3)
	v_mul_f32_e32 v22, 0x3fb8aa3b, v18
	v_cmp_ngt_f32_e32 vcc_lo, 0xc2ce8ed0, v18
	ds_bpermute_b32 v21, v8, v16
	v_fma_f32 v23, 0x3fb8aa3b, v18, -v22
	v_rndne_f32_e32 v24, v22
	v_fmac_f32_e32 v23, 0x32a5705f, v18
	v_sub_f32_e32 v22, v22, v24
	v_add_f32_e32 v22, v22, v23
	v_cvt_i32_f32_e32 v23, v24
	s_waitcnt lgkmcnt(0)
	v_add_f32_e32 v16, v16, v21
	ds_bpermute_b32 v21, v9, v16
	s_waitcnt lgkmcnt(0)
	v_add_f32_e32 v16, v16, v21
	ds_bpermute_b32 v21, v10, v16
	;; [unrolled: 3-line block ×3, first 2 shown]
	s_waitcnt lgkmcnt(0)
	v_add_f32_e32 v16, v16, v21
	v_exp_f32_e32 v21, v22
	ds_bpermute_b32 v22, v12, v16
	v_ldexp_f32 v21, v21, v23
	v_cndmask_b32_e32 v21, 0, v21, vcc_lo
	v_cmp_nlt_f32_e32 vcc_lo, 0x42b17218, v18
	v_cndmask_b32_e32 v18, 0x7f800000, v21, vcc_lo
	s_waitcnt lgkmcnt(0)
	v_add_f32_e32 v16, v16, v22
	v_mul_f32_e32 v6, v18, v6
	s_waitcnt vmcnt(2)
	v_fma_f32 v16, -v18, v16, v19
	s_waitcnt vmcnt(1)
	v_mul_f32_e32 v16, v20, v16
	v_fmac_f32_e32 v6, v17, v16
	s_waitcnt vmcnt(0)
	v_fma_f32 v15, v15, v6, 0
	ds_bpermute_b32 v16, v8, v15
	s_waitcnt lgkmcnt(0)
	v_add_f32_e32 v15, v15, v16
	ds_bpermute_b32 v16, v9, v15
	s_waitcnt lgkmcnt(0)
	v_add_f32_e32 v15, v15, v16
	;; [unrolled: 3-line block ×4, first 2 shown]
	ds_bpermute_b32 v16, v12, v15
	s_and_saveexec_b32 s1, s0
	s_cbranch_execz .LBB13_2
; %bb.4:                                ;   in Loop: Header=BB13_3 Depth=1
	s_waitcnt lgkmcnt(0)
	v_add_f32_e32 v15, v15, v16
	v_mul_f32_e32 v15, s30, v15
	global_store_dword v[4:5], v15, off
	s_branch .LBB13_2
.LBB13_5:
	s_mul_i32 s0, s26, s37
	s_mul_hi_u32 s1, s26, s36
	s_mul_i32 s2, s26, s36
	s_add_i32 s0, s1, s0
	s_mul_i32 s1, s27, s36
	s_mul_i32 s3, s2, s39
	s_mul_hi_u32 s4, s2, s38
	s_add_i32 s0, s0, s1
	v_add_nc_u32_e32 v0, v1, v0
	s_add_i32 s1, s4, s3
	s_mul_i32 s0, s0, s38
	s_add_i32 s1, s1, s0
	s_mul_i32 s0, s2, s38
	v_ashrrev_i32_e32 v1, 31, v0
	s_lshl_b64 s[0:1], s[0:1], 7
	s_add_u32 s2, s24, s0
	s_addc_u32 s3, s25, s1
	s_add_u32 s0, s28, s6
	s_addc_u32 s1, s29, 0
	v_lshlrev_b64 v[0:1], 2, v[0:1]
	s_lshl_b64 s[0:1], s[0:1], 12
	s_add_u32 s0, s2, s0
	s_addc_u32 s1, s3, s1
	v_add_co_u32 v0, vcc_lo, s0, v0
	v_add_co_ci_u32_e64 v1, null, s1, v1, vcc_lo
	s_waitcnt vmcnt(0)
	global_store_dword v[0:1], v6, off
	s_endpgm
	.section	.rodata,"a",@progbits
	.p2align	6, 0x0
	.amdhsa_kernel _Z20gated_delta_net_cudaILi32ELb0ELb0EEvPKfS1_S1_S1_S1_S1_Pfllllllllllll15HIP_vector_typeIjLj3EES4_fi
		.amdhsa_group_segment_fixed_size 0
		.amdhsa_private_segment_fixed_size 0
		.amdhsa_kernarg_size 440
		.amdhsa_user_sgpr_count 6
		.amdhsa_user_sgpr_private_segment_buffer 1
		.amdhsa_user_sgpr_dispatch_ptr 0
		.amdhsa_user_sgpr_queue_ptr 0
		.amdhsa_user_sgpr_kernarg_segment_ptr 1
		.amdhsa_user_sgpr_dispatch_id 0
		.amdhsa_user_sgpr_flat_scratch_init 0
		.amdhsa_user_sgpr_private_segment_size 0
		.amdhsa_wavefront_size32 1
		.amdhsa_uses_dynamic_stack 0
		.amdhsa_system_sgpr_private_segment_wavefront_offset 0
		.amdhsa_system_sgpr_workgroup_id_x 1
		.amdhsa_system_sgpr_workgroup_id_y 1
		.amdhsa_system_sgpr_workgroup_id_z 1
		.amdhsa_system_sgpr_workgroup_info 0
		.amdhsa_system_vgpr_workitem_id 1
		.amdhsa_next_free_vgpr 25
		.amdhsa_next_free_sgpr 53
		.amdhsa_reserve_vcc 1
		.amdhsa_reserve_flat_scratch 0
		.amdhsa_float_round_mode_32 0
		.amdhsa_float_round_mode_16_64 0
		.amdhsa_float_denorm_mode_32 3
		.amdhsa_float_denorm_mode_16_64 3
		.amdhsa_dx10_clamp 1
		.amdhsa_ieee_mode 1
		.amdhsa_fp16_overflow 0
		.amdhsa_workgroup_processor_mode 1
		.amdhsa_memory_ordered 1
		.amdhsa_forward_progress 1
		.amdhsa_shared_vgpr_count 0
		.amdhsa_exception_fp_ieee_invalid_op 0
		.amdhsa_exception_fp_denorm_src 0
		.amdhsa_exception_fp_ieee_div_zero 0
		.amdhsa_exception_fp_ieee_overflow 0
		.amdhsa_exception_fp_ieee_underflow 0
		.amdhsa_exception_fp_ieee_inexact 0
		.amdhsa_exception_int_div_zero 0
	.end_amdhsa_kernel
	.section	.text._Z20gated_delta_net_cudaILi32ELb0ELb0EEvPKfS1_S1_S1_S1_S1_Pfllllllllllll15HIP_vector_typeIjLj3EES4_fi,"axG",@progbits,_Z20gated_delta_net_cudaILi32ELb0ELb0EEvPKfS1_S1_S1_S1_S1_Pfllllllllllll15HIP_vector_typeIjLj3EES4_fi,comdat
.Lfunc_end13:
	.size	_Z20gated_delta_net_cudaILi32ELb0ELb0EEvPKfS1_S1_S1_S1_S1_Pfllllllllllll15HIP_vector_typeIjLj3EES4_fi, .Lfunc_end13-_Z20gated_delta_net_cudaILi32ELb0ELb0EEvPKfS1_S1_S1_S1_S1_Pfllllllllllll15HIP_vector_typeIjLj3EES4_fi
                                        ; -- End function
	.set _Z20gated_delta_net_cudaILi32ELb0ELb0EEvPKfS1_S1_S1_S1_S1_Pfllllllllllll15HIP_vector_typeIjLj3EES4_fi.num_vgpr, 25
	.set _Z20gated_delta_net_cudaILi32ELb0ELb0EEvPKfS1_S1_S1_S1_S1_Pfllllllllllll15HIP_vector_typeIjLj3EES4_fi.num_agpr, 0
	.set _Z20gated_delta_net_cudaILi32ELb0ELb0EEvPKfS1_S1_S1_S1_S1_Pfllllllllllll15HIP_vector_typeIjLj3EES4_fi.numbered_sgpr, 53
	.set _Z20gated_delta_net_cudaILi32ELb0ELb0EEvPKfS1_S1_S1_S1_S1_Pfllllllllllll15HIP_vector_typeIjLj3EES4_fi.num_named_barrier, 0
	.set _Z20gated_delta_net_cudaILi32ELb0ELb0EEvPKfS1_S1_S1_S1_S1_Pfllllllllllll15HIP_vector_typeIjLj3EES4_fi.private_seg_size, 0
	.set _Z20gated_delta_net_cudaILi32ELb0ELb0EEvPKfS1_S1_S1_S1_S1_Pfllllllllllll15HIP_vector_typeIjLj3EES4_fi.uses_vcc, 1
	.set _Z20gated_delta_net_cudaILi32ELb0ELb0EEvPKfS1_S1_S1_S1_S1_Pfllllllllllll15HIP_vector_typeIjLj3EES4_fi.uses_flat_scratch, 0
	.set _Z20gated_delta_net_cudaILi32ELb0ELb0EEvPKfS1_S1_S1_S1_S1_Pfllllllllllll15HIP_vector_typeIjLj3EES4_fi.has_dyn_sized_stack, 0
	.set _Z20gated_delta_net_cudaILi32ELb0ELb0EEvPKfS1_S1_S1_S1_S1_Pfllllllllllll15HIP_vector_typeIjLj3EES4_fi.has_recursion, 0
	.set _Z20gated_delta_net_cudaILi32ELb0ELb0EEvPKfS1_S1_S1_S1_S1_Pfllllllllllll15HIP_vector_typeIjLj3EES4_fi.has_indirect_call, 0
	.section	.AMDGPU.csdata,"",@progbits
; Kernel info:
; codeLenInByte = 1252
; TotalNumSgprs: 55
; NumVgprs: 25
; ScratchSize: 0
; MemoryBound: 0
; FloatMode: 240
; IeeeMode: 1
; LDSByteSize: 0 bytes/workgroup (compile time only)
; SGPRBlocks: 0
; VGPRBlocks: 3
; NumSGPRsForWavesPerEU: 55
; NumVGPRsForWavesPerEU: 25
; Occupancy: 16
; WaveLimiterHint : 0
; COMPUTE_PGM_RSRC2:SCRATCH_EN: 0
; COMPUTE_PGM_RSRC2:USER_SGPR: 6
; COMPUTE_PGM_RSRC2:TRAP_HANDLER: 0
; COMPUTE_PGM_RSRC2:TGID_X_EN: 1
; COMPUTE_PGM_RSRC2:TGID_Y_EN: 1
; COMPUTE_PGM_RSRC2:TGID_Z_EN: 1
; COMPUTE_PGM_RSRC2:TIDIG_COMP_CNT: 1
	.section	.text._Z20gated_delta_net_cudaILi64ELb0ELb0EEvPKfS1_S1_S1_S1_S1_Pfllllllllllll15HIP_vector_typeIjLj3EES4_fi,"axG",@progbits,_Z20gated_delta_net_cudaILi64ELb0ELb0EEvPKfS1_S1_S1_S1_S1_Pfllllllllllll15HIP_vector_typeIjLj3EES4_fi,comdat
	.protected	_Z20gated_delta_net_cudaILi64ELb0ELb0EEvPKfS1_S1_S1_S1_S1_Pfllllllllllll15HIP_vector_typeIjLj3EES4_fi ; -- Begin function _Z20gated_delta_net_cudaILi64ELb0ELb0EEvPKfS1_S1_S1_S1_S1_Pfllllllllllll15HIP_vector_typeIjLj3EES4_fi
	.globl	_Z20gated_delta_net_cudaILi64ELb0ELb0EEvPKfS1_S1_S1_S1_S1_Pfllllllllllll15HIP_vector_typeIjLj3EES4_fi
	.p2align	8
	.type	_Z20gated_delta_net_cudaILi64ELb0ELb0EEvPKfS1_S1_S1_S1_S1_Pfllllllllllll15HIP_vector_typeIjLj3EES4_fi,@function
_Z20gated_delta_net_cudaILi64ELb0ELb0EEvPKfS1_S1_S1_S1_S1_Pfllllllllllll15HIP_vector_typeIjLj3EES4_fi: ; @_Z20gated_delta_net_cudaILi64ELb0ELb0EEvPKfS1_S1_S1_S1_S1_Pfllllllllllll15HIP_vector_typeIjLj3EES4_fi
; %bb.0:
	s_clause 0x1
	s_load_dword s0, s[4:5], 0xc4
	s_load_dwordx16 s[12:27], s[4:5], 0x0
	s_mov_b32 s1, 0
	v_lshlrev_b32_e32 v8, 2, v0
	s_load_dwordx16 s[36:51], s[4:5], 0x40
	v_mov_b32_e32 v9, 0
	s_waitcnt lgkmcnt(0)
	s_lshr_b32 s0, s0, 16
	s_mul_hi_u32 s2, s26, s7
	v_mad_u64_u32 v[3:4], null, s8, s0, v[1:2]
	s_mul_i32 s0, s27, s7
	s_mul_i32 s28, s26, s7
	s_add_i32 s29, s2, s0
	s_lshl_b32 s0, s6, 12
	s_lshl_b64 s[2:3], s[28:29], 14
	s_add_u32 s2, s22, s2
	v_lshlrev_b32_e32 v1, 6, v3
	s_addc_u32 s3, s23, s3
	s_lshl_b64 s[0:1], s[0:1], 2
	s_add_u32 s0, s2, s0
	v_ashrrev_i32_e32 v2, 31, v1
	s_addc_u32 s1, s3, s1
	v_lshlrev_b64 v[4:5], 2, v[1:2]
	v_add_co_u32 v2, vcc_lo, s0, v4
	v_add_co_ci_u32_e64 v5, null, s1, v5, vcc_lo
	v_cmp_lt_i64_e64 s0, s[36:37], 1
	v_add_co_u32 v4, vcc_lo, v2, v8
	v_add_co_ci_u32_e64 v5, null, 0, v5, vcc_lo
	s_clause 0x1
	global_load_dword v6, v[4:5], off
	global_load_dword v7, v[4:5], off offset:128
	s_and_b32 vcc_lo, exec_lo, s0
	s_cbranch_vccnz .LBB14_5
; %bb.1:
	v_mbcnt_lo_u32_b32 v2, -1, 0
	s_clause 0x4
	s_load_dwordx4 s[8:11], s[4:5], 0x98
	s_load_dwordx4 s[0:3], s[4:5], 0x80
	s_load_dwordx2 s[30:31], s[4:5], 0x90
	s_load_dword s23, s[4:5], 0xa8
	s_load_dword s22, s[4:5], 0xb0
	s_mul_i32 s5, s28, s37
	s_mul_hi_u32 s33, s28, s36
	s_mul_i32 s34, s29, s36
	v_xor_b32_e32 v4, 16, v2
	v_xor_b32_e32 v5, 8, v2
	s_add_i32 s5, s33, s5
	s_mul_i32 s35, s28, s36
	s_add_i32 s5, s5, s34
	v_cmp_gt_i32_e32 vcc_lo, 32, v4
	s_add_u32 s34, s35, s6
	v_xor_b32_e32 v12, 1, v2
	s_addc_u32 s35, s5, 0
	s_mul_i32 s51, s51, s7
	v_cndmask_b32_e32 v4, v2, v4, vcc_lo
	v_cmp_gt_i32_e32 vcc_lo, 32, v5
	s_waitcnt lgkmcnt(0)
	s_mul_hi_u32 s8, s8, s6
	s_mul_hi_u32 s52, s50, s7
	s_add_i32 s8, s6, s8
	v_lshlrev_b32_e32 v10, 2, v4
	v_xor_b32_e32 v4, 4, v2
	v_cndmask_b32_e32 v11, v2, v5, vcc_lo
	v_xor_b32_e32 v5, 2, v2
	s_mul_hi_u32 s11, s11, s7
	s_lshr_b32 s8, s8, s9
	v_cmp_gt_i32_e32 vcc_lo, 32, v4
	s_mul_i32 s4, s50, s7
	s_add_i32 s5, s52, s51
	s_add_i32 s9, s7, s11
	s_mul_i32 s8, s8, s10
	v_cndmask_b32_e32 v13, v2, v4, vcc_lo
	v_cmp_gt_i32_e32 vcc_lo, 32, v5
	v_ashrrev_i32_e32 v4, 31, v3
	s_lshl_b64 s[4:5], s[4:5], 2
	s_mul_i32 s47, s47, s6
	s_mul_hi_u32 s33, s46, s6
	v_cndmask_b32_e32 v14, v2, v5, vcc_lo
	v_cmp_gt_i32_e32 vcc_lo, 32, v12
	s_lshl_b64 s[34:35], s[34:35], 8
	s_lshr_b32 s9, s9, s23
	s_sub_i32 s8, s6, s8
	s_add_u32 s10, s16, s4
	s_addc_u32 s11, s17, s5
	s_add_i32 s5, s33, s47
	s_mul_i32 s4, s46, s6
	v_lshlrev_b64 v[4:5], 2, v[3:4]
	v_cndmask_b32_e32 v2, v2, v12, vcc_lo
	s_lshl_b64 s[4:5], s[4:5], 2
	s_mul_hi_u32 s16, s30, s7
	s_add_u32 s4, s10, s4
	s_mul_i32 s10, s31, s7
	s_mul_i32 s17, s30, s7
	;; [unrolled: 1-line block ×3, first 2 shown]
	s_mul_hi_u32 s7, s0, s6
	s_addc_u32 s5, s11, s5
	s_add_i32 s16, s16, s10
	s_add_i32 s23, s7, s1
	v_lshlrev_b32_e32 v12, 2, v13
	v_lshlrev_b32_e32 v13, 2, v14
	;; [unrolled: 1-line block ×3, first 2 shown]
	v_add_co_u32 v2, vcc_lo, s4, v4
	s_mul_i32 s1, s45, s9
	s_mul_hi_u32 s4, s44, s9
	s_add_u32 s31, s24, s34
	v_add_co_ci_u32_e64 v3, null, s5, v5, vcc_lo
	s_addc_u32 s33, s25, s35
	s_add_i32 s5, s4, s1
	s_mul_i32 s1, s41, s8
	s_mul_hi_u32 s7, s40, s8
	s_mul_i32 s4, s44, s9
	s_add_i32 s9, s7, s1
	s_mul_i32 s8, s40, s8
	s_lshl_b64 s[10:11], s[4:5], 2
	s_lshl_b64 s[8:9], s[8:9], 2
	;; [unrolled: 1-line block ×3, first 2 shown]
	s_add_u32 s1, s10, s8
	s_addc_u32 s7, s11, s9
	s_add_u32 s34, s1, 0x80
	s_addc_u32 s35, s7, 0
	s_mul_i32 s30, s0, s6
	s_add_u32 s1, s12, s34
	s_addc_u32 s7, s13, s35
	s_lshl_b64 s[8:9], s[42:43], 2
	s_add_u32 s10, s17, s30
	v_add_co_u32 v4, vcc_lo, s31, v4
	s_addc_u32 s11, s16, s23
	v_lshlrev_b32_e32 v11, 2, v11
	v_cmp_eq_u32_e64 s0, 0, v0
	v_add_co_ci_u32_e64 v5, null, s33, v5, vcc_lo
	s_lshl_b64 s[10:11], s[10:11], 2
	s_lshl_b64 s[2:3], s[2:3], 2
	s_add_u32 s16, s14, s34
	s_addc_u32 s17, s15, s35
	s_lshl_b64 s[12:13], s[48:49], 2
	s_mov_b64 s[14:15], 0
	s_branch .LBB14_3
.LBB14_2:                               ;   in Loop: Header=BB14_3 Depth=1
	s_or_b32 exec_lo, exec_lo, s23
	s_add_u32 s14, s14, 1
	s_addc_u32 s15, s15, 0
	v_add_co_u32 v4, vcc_lo, v4, s4
	v_cmp_le_i64_e64 s23, s[36:37], s[14:15]
	v_add_co_ci_u32_e64 v5, null, s5, v5, vcc_lo
	s_add_u32 s1, s1, s8
	v_add_co_u32 v2, vcc_lo, v2, s12
	s_addc_u32 s7, s7, s9
	s_add_u32 s10, s10, s2
	v_add_co_ci_u32_e64 v3, null, s13, v3, vcc_lo
	s_addc_u32 s11, s11, s3
	s_add_u32 s16, s16, s8
	s_addc_u32 s17, s17, s9
	s_and_b32 vcc_lo, exec_lo, s23
	s_cbranch_vccnz .LBB14_5
.LBB14_3:                               ; =>This Inner Loop Header: Depth=1
	v_add_co_u32 v15, s23, s16, v8
	s_waitcnt lgkmcnt(0)
	v_add_co_ci_u32_e64 v16, null, s17, 0, s23
	s_add_u32 s30, s20, s10
	s_addc_u32 s31, s21, s11
	s_add_u32 s34, s18, s10
	s_clause 0x1
	global_load_dword v17, v[15:16], off offset:-128
	global_load_dword v18, v[15:16], off
	s_addc_u32 s35, s19, s11
	global_load_dword v19, v9, s[34:35]
	global_load_dword v20, v[2:3], off
	global_load_dword v21, v9, s[30:31]
	v_add_co_u32 v15, s23, s1, v8
	v_add_co_ci_u32_e64 v16, null, s7, 0, s23
	s_clause 0x1
	global_load_dword v22, v[15:16], off offset:-128
	global_load_dword v15, v[15:16], off
	s_waitcnt vmcnt(8)
	v_mov_b32_e32 v16, v6
	s_waitcnt vmcnt(7)
	v_mov_b32_e32 v23, v7
	s_waitcnt vmcnt(6)
	v_fma_f32 v6, v16, v17, 0
	s_waitcnt vmcnt(4)
	v_mul_f32_e32 v24, 0x3fb8aa3b, v19
	v_cmp_ngt_f32_e32 vcc_lo, 0xc2ce8ed0, v19
	v_fmac_f32_e32 v6, v23, v18
	v_fma_f32 v25, 0x3fb8aa3b, v19, -v24
	v_rndne_f32_e32 v26, v24
	ds_bpermute_b32 v7, v10, v6
	v_fmac_f32_e32 v25, 0x32a5705f, v19
	v_sub_f32_e32 v24, v24, v26
	v_add_f32_e32 v24, v24, v25
	v_cvt_i32_f32_e32 v25, v26
	s_waitcnt lgkmcnt(0)
	v_add_f32_e32 v6, v6, v7
	ds_bpermute_b32 v7, v11, v6
	s_waitcnt lgkmcnt(0)
	v_add_f32_e32 v6, v6, v7
	ds_bpermute_b32 v7, v12, v6
	;; [unrolled: 3-line block ×3, first 2 shown]
	s_waitcnt lgkmcnt(0)
	v_add_f32_e32 v6, v6, v7
	v_exp_f32_e32 v7, v24
	ds_bpermute_b32 v24, v14, v6
	v_ldexp_f32 v7, v7, v25
	v_cndmask_b32_e32 v7, 0, v7, vcc_lo
	v_cmp_nlt_f32_e32 vcc_lo, 0x42b17218, v19
	v_cndmask_b32_e32 v19, 0x7f800000, v7, vcc_lo
	s_waitcnt lgkmcnt(0)
	v_add_f32_e32 v6, v6, v24
	s_waitcnt vmcnt(3)
	v_fma_f32 v6, -v19, v6, v20
	s_waitcnt vmcnt(2)
	v_mul_f32_e32 v7, v21, v6
	v_mul_f32_e32 v6, v7, v17
	v_mul_f32_e32 v7, v7, v18
	v_fmac_f32_e32 v6, v19, v16
	v_fmac_f32_e32 v7, v19, v23
	s_waitcnt vmcnt(1)
	v_fma_f32 v16, v22, v6, 0
	s_waitcnt vmcnt(0)
	v_fmac_f32_e32 v16, v15, v7
	ds_bpermute_b32 v15, v10, v16
	s_waitcnt lgkmcnt(0)
	v_add_f32_e32 v15, v16, v15
	ds_bpermute_b32 v16, v11, v15
	s_waitcnt lgkmcnt(0)
	v_add_f32_e32 v15, v15, v16
	;; [unrolled: 3-line block ×4, first 2 shown]
	ds_bpermute_b32 v16, v14, v15
	s_and_saveexec_b32 s23, s0
	s_cbranch_execz .LBB14_2
; %bb.4:                                ;   in Loop: Header=BB14_3 Depth=1
	s_waitcnt lgkmcnt(0)
	v_add_f32_e32 v15, v15, v16
	v_mul_f32_e32 v15, s22, v15
	global_store_dword v[4:5], v15, off
	s_branch .LBB14_2
.LBB14_5:
	s_mul_i32 s0, s26, s37
	s_mul_hi_u32 s1, s26, s36
	s_mul_i32 s2, s26, s36
	s_add_i32 s0, s1, s0
	s_mul_i32 s1, s27, s36
	s_mul_i32 s3, s2, s39
	s_mul_hi_u32 s4, s2, s38
	s_add_i32 s0, s0, s1
	v_add_nc_u32_e32 v0, v1, v0
	s_add_i32 s1, s4, s3
	s_mul_i32 s0, s0, s38
	s_add_i32 s1, s1, s0
	s_mul_i32 s0, s2, s38
	v_ashrrev_i32_e32 v1, 31, v0
	s_lshl_b64 s[0:1], s[0:1], 8
	s_add_u32 s2, s24, s0
	s_addc_u32 s3, s25, s1
	s_add_u32 s0, s28, s6
	s_addc_u32 s1, s29, 0
	v_lshlrev_b64 v[0:1], 2, v[0:1]
	s_lshl_b64 s[0:1], s[0:1], 14
	s_add_u32 s0, s2, s0
	s_addc_u32 s1, s3, s1
	v_add_co_u32 v0, vcc_lo, s0, v0
	v_add_co_ci_u32_e64 v1, null, s1, v1, vcc_lo
	s_waitcnt vmcnt(1)
	global_store_dword v[0:1], v6, off
	s_waitcnt vmcnt(0)
	global_store_dword v[0:1], v7, off offset:128
	s_endpgm
	.section	.rodata,"a",@progbits
	.p2align	6, 0x0
	.amdhsa_kernel _Z20gated_delta_net_cudaILi64ELb0ELb0EEvPKfS1_S1_S1_S1_S1_Pfllllllllllll15HIP_vector_typeIjLj3EES4_fi
		.amdhsa_group_segment_fixed_size 0
		.amdhsa_private_segment_fixed_size 0
		.amdhsa_kernarg_size 440
		.amdhsa_user_sgpr_count 6
		.amdhsa_user_sgpr_private_segment_buffer 1
		.amdhsa_user_sgpr_dispatch_ptr 0
		.amdhsa_user_sgpr_queue_ptr 0
		.amdhsa_user_sgpr_kernarg_segment_ptr 1
		.amdhsa_user_sgpr_dispatch_id 0
		.amdhsa_user_sgpr_flat_scratch_init 0
		.amdhsa_user_sgpr_private_segment_size 0
		.amdhsa_wavefront_size32 1
		.amdhsa_uses_dynamic_stack 0
		.amdhsa_system_sgpr_private_segment_wavefront_offset 0
		.amdhsa_system_sgpr_workgroup_id_x 1
		.amdhsa_system_sgpr_workgroup_id_y 1
		.amdhsa_system_sgpr_workgroup_id_z 1
		.amdhsa_system_sgpr_workgroup_info 0
		.amdhsa_system_vgpr_workitem_id 1
		.amdhsa_next_free_vgpr 27
		.amdhsa_next_free_sgpr 53
		.amdhsa_reserve_vcc 1
		.amdhsa_reserve_flat_scratch 0
		.amdhsa_float_round_mode_32 0
		.amdhsa_float_round_mode_16_64 0
		.amdhsa_float_denorm_mode_32 3
		.amdhsa_float_denorm_mode_16_64 3
		.amdhsa_dx10_clamp 1
		.amdhsa_ieee_mode 1
		.amdhsa_fp16_overflow 0
		.amdhsa_workgroup_processor_mode 1
		.amdhsa_memory_ordered 1
		.amdhsa_forward_progress 1
		.amdhsa_shared_vgpr_count 0
		.amdhsa_exception_fp_ieee_invalid_op 0
		.amdhsa_exception_fp_denorm_src 0
		.amdhsa_exception_fp_ieee_div_zero 0
		.amdhsa_exception_fp_ieee_overflow 0
		.amdhsa_exception_fp_ieee_underflow 0
		.amdhsa_exception_fp_ieee_inexact 0
		.amdhsa_exception_int_div_zero 0
	.end_amdhsa_kernel
	.section	.text._Z20gated_delta_net_cudaILi64ELb0ELb0EEvPKfS1_S1_S1_S1_S1_Pfllllllllllll15HIP_vector_typeIjLj3EES4_fi,"axG",@progbits,_Z20gated_delta_net_cudaILi64ELb0ELb0EEvPKfS1_S1_S1_S1_S1_Pfllllllllllll15HIP_vector_typeIjLj3EES4_fi,comdat
.Lfunc_end14:
	.size	_Z20gated_delta_net_cudaILi64ELb0ELb0EEvPKfS1_S1_S1_S1_S1_Pfllllllllllll15HIP_vector_typeIjLj3EES4_fi, .Lfunc_end14-_Z20gated_delta_net_cudaILi64ELb0ELb0EEvPKfS1_S1_S1_S1_S1_Pfllllllllllll15HIP_vector_typeIjLj3EES4_fi
                                        ; -- End function
	.set _Z20gated_delta_net_cudaILi64ELb0ELb0EEvPKfS1_S1_S1_S1_S1_Pfllllllllllll15HIP_vector_typeIjLj3EES4_fi.num_vgpr, 27
	.set _Z20gated_delta_net_cudaILi64ELb0ELb0EEvPKfS1_S1_S1_S1_S1_Pfllllllllllll15HIP_vector_typeIjLj3EES4_fi.num_agpr, 0
	.set _Z20gated_delta_net_cudaILi64ELb0ELb0EEvPKfS1_S1_S1_S1_S1_Pfllllllllllll15HIP_vector_typeIjLj3EES4_fi.numbered_sgpr, 53
	.set _Z20gated_delta_net_cudaILi64ELb0ELb0EEvPKfS1_S1_S1_S1_S1_Pfllllllllllll15HIP_vector_typeIjLj3EES4_fi.num_named_barrier, 0
	.set _Z20gated_delta_net_cudaILi64ELb0ELb0EEvPKfS1_S1_S1_S1_S1_Pfllllllllllll15HIP_vector_typeIjLj3EES4_fi.private_seg_size, 0
	.set _Z20gated_delta_net_cudaILi64ELb0ELb0EEvPKfS1_S1_S1_S1_S1_Pfllllllllllll15HIP_vector_typeIjLj3EES4_fi.uses_vcc, 1
	.set _Z20gated_delta_net_cudaILi64ELb0ELb0EEvPKfS1_S1_S1_S1_S1_Pfllllllllllll15HIP_vector_typeIjLj3EES4_fi.uses_flat_scratch, 0
	.set _Z20gated_delta_net_cudaILi64ELb0ELb0EEvPKfS1_S1_S1_S1_S1_Pfllllllllllll15HIP_vector_typeIjLj3EES4_fi.has_dyn_sized_stack, 0
	.set _Z20gated_delta_net_cudaILi64ELb0ELb0EEvPKfS1_S1_S1_S1_S1_Pfllllllllllll15HIP_vector_typeIjLj3EES4_fi.has_recursion, 0
	.set _Z20gated_delta_net_cudaILi64ELb0ELb0EEvPKfS1_S1_S1_S1_S1_Pfllllllllllll15HIP_vector_typeIjLj3EES4_fi.has_indirect_call, 0
	.section	.AMDGPU.csdata,"",@progbits
; Kernel info:
; codeLenInByte = 1348
; TotalNumSgprs: 55
; NumVgprs: 27
; ScratchSize: 0
; MemoryBound: 0
; FloatMode: 240
; IeeeMode: 1
; LDSByteSize: 0 bytes/workgroup (compile time only)
; SGPRBlocks: 0
; VGPRBlocks: 3
; NumSGPRsForWavesPerEU: 55
; NumVGPRsForWavesPerEU: 27
; Occupancy: 16
; WaveLimiterHint : 1
; COMPUTE_PGM_RSRC2:SCRATCH_EN: 0
; COMPUTE_PGM_RSRC2:USER_SGPR: 6
; COMPUTE_PGM_RSRC2:TRAP_HANDLER: 0
; COMPUTE_PGM_RSRC2:TGID_X_EN: 1
; COMPUTE_PGM_RSRC2:TGID_Y_EN: 1
; COMPUTE_PGM_RSRC2:TGID_Z_EN: 1
; COMPUTE_PGM_RSRC2:TIDIG_COMP_CNT: 1
	.section	.text._Z20gated_delta_net_cudaILi128ELb0ELb0EEvPKfS1_S1_S1_S1_S1_Pfllllllllllll15HIP_vector_typeIjLj3EES4_fi,"axG",@progbits,_Z20gated_delta_net_cudaILi128ELb0ELb0EEvPKfS1_S1_S1_S1_S1_Pfllllllllllll15HIP_vector_typeIjLj3EES4_fi,comdat
	.protected	_Z20gated_delta_net_cudaILi128ELb0ELb0EEvPKfS1_S1_S1_S1_S1_Pfllllllllllll15HIP_vector_typeIjLj3EES4_fi ; -- Begin function _Z20gated_delta_net_cudaILi128ELb0ELb0EEvPKfS1_S1_S1_S1_S1_Pfllllllllllll15HIP_vector_typeIjLj3EES4_fi
	.globl	_Z20gated_delta_net_cudaILi128ELb0ELb0EEvPKfS1_S1_S1_S1_S1_Pfllllllllllll15HIP_vector_typeIjLj3EES4_fi
	.p2align	8
	.type	_Z20gated_delta_net_cudaILi128ELb0ELb0EEvPKfS1_S1_S1_S1_S1_Pfllllllllllll15HIP_vector_typeIjLj3EES4_fi,@function
_Z20gated_delta_net_cudaILi128ELb0ELb0EEvPKfS1_S1_S1_S1_S1_Pfllllllllllll15HIP_vector_typeIjLj3EES4_fi: ; @_Z20gated_delta_net_cudaILi128ELb0ELb0EEvPKfS1_S1_S1_S1_S1_Pfllllllllllll15HIP_vector_typeIjLj3EES4_fi
; %bb.0:
	s_clause 0x1
	s_load_dword s0, s[4:5], 0xc4
	s_load_dwordx16 s[12:27], s[4:5], 0x0
	s_mov_b32 s1, 0
	v_lshlrev_b32_e32 v10, 2, v0
	s_load_dwordx16 s[36:51], s[4:5], 0x40
	v_mov_b32_e32 v11, 0
	s_waitcnt lgkmcnt(0)
	s_lshr_b32 s0, s0, 16
	s_mul_hi_u32 s2, s26, s7
	v_mad_u64_u32 v[3:4], null, s8, s0, v[1:2]
	s_mul_i32 s0, s27, s7
	s_mul_i32 s28, s26, s7
	s_add_i32 s29, s2, s0
	s_lshl_b32 s0, s6, 14
	s_lshl_b64 s[2:3], s[28:29], 16
	s_add_u32 s2, s22, s2
	v_lshlrev_b32_e32 v1, 7, v3
	s_addc_u32 s3, s23, s3
	s_lshl_b64 s[0:1], s[0:1], 2
	s_add_u32 s0, s2, s0
	v_ashrrev_i32_e32 v2, 31, v1
	s_addc_u32 s1, s3, s1
	v_lshlrev_b64 v[4:5], 2, v[1:2]
	v_add_co_u32 v2, vcc_lo, s0, v4
	v_add_co_ci_u32_e64 v5, null, s1, v5, vcc_lo
	v_cmp_lt_i64_e64 s0, s[36:37], 1
	v_add_co_u32 v4, vcc_lo, v2, v10
	v_add_co_ci_u32_e64 v5, null, 0, v5, vcc_lo
	s_clause 0x3
	global_load_dword v6, v[4:5], off
	global_load_dword v7, v[4:5], off offset:128
	global_load_dword v8, v[4:5], off offset:256
	;; [unrolled: 1-line block ×3, first 2 shown]
	s_and_b32 vcc_lo, exec_lo, s0
	s_cbranch_vccnz .LBB15_5
; %bb.1:
	s_clause 0x4
	s_load_dwordx4 s[8:11], s[4:5], 0x98
	s_load_dword s31, s[4:5], 0xa8
	s_load_dwordx4 s[0:3], s[4:5], 0x80
	s_load_dwordx2 s[22:23], s[4:5], 0x90
	s_load_dword s30, s[4:5], 0xb0
	v_mbcnt_lo_u32_b32 v2, -1, 0
	s_mul_i32 s4, s28, s37
	s_mul_hi_u32 s5, s28, s36
	s_mul_i32 s33, s29, s36
	s_add_i32 s4, s5, s4
	v_xor_b32_e32 v4, 16, v2
	s_mul_i32 s5, s28, s36
	s_add_i32 s33, s4, s33
	s_add_u32 s4, s5, s6
	s_addc_u32 s5, s33, 0
	v_cmp_gt_i32_e32 vcc_lo, 32, v4
	v_xor_b32_e32 v5, 8, v2
	s_lshl_b64 s[4:5], s[4:5], 9
	s_mul_i32 s51, s51, s7
	v_xor_b32_e32 v14, 1, v2
	s_waitcnt lgkmcnt(0)
	s_mul_hi_u32 s8, s8, s6
	s_mul_hi_u32 s11, s11, s7
	s_add_i32 s8, s6, s8
	s_add_i32 s11, s7, s11
	s_lshr_b32 s8, s8, s9
	s_lshr_b32 s9, s11, s31
	s_mul_i32 s10, s8, s10
	s_mul_i32 s11, s45, s9
	s_mul_hi_u32 s31, s44, s9
	v_cndmask_b32_e32 v4, v2, v4, vcc_lo
	s_mul_i32 s8, s44, s9
	s_add_i32 s9, s31, s11
	s_sub_i32 s10, s6, s10
	s_lshl_b64 s[8:9], s[8:9], 2
	s_mul_i32 s11, s41, s10
	s_mul_hi_u32 s31, s40, s10
	s_add_u32 s33, s12, s8
	v_lshlrev_b32_e32 v12, 2, v4
	v_xor_b32_e32 v4, 4, v2
	v_cmp_gt_i32_e32 vcc_lo, 32, v5
	s_mul_i32 s10, s40, s10
	s_addc_u32 s13, s13, s9
	s_add_i32 s11, s31, s11
	s_mul_hi_u32 s40, s50, s7
	s_lshl_b64 s[10:11], s[10:11], 2
	v_cndmask_b32_e32 v13, v2, v5, vcc_lo
	s_add_u32 s31, s33, s10
	v_xor_b32_e32 v5, 2, v2
	v_cmp_gt_i32_e32 vcc_lo, 32, v4
	s_addc_u32 s33, s13, s11
	s_add_u32 s8, s14, s8
	s_addc_u32 s9, s15, s9
	s_add_u32 s34, s8, s10
	s_mul_i32 s12, s50, s7
	s_addc_u32 s35, s9, s11
	s_add_i32 s13, s40, s51
	v_cndmask_b32_e32 v15, v2, v4, vcc_lo
	v_cmp_gt_i32_e32 vcc_lo, 32, v5
	s_lshl_b64 s[8:9], s[12:13], 2
	s_mul_i32 s10, s47, s6
	s_add_u32 s11, s16, s8
	s_mul_hi_u32 s8, s46, s6
	v_ashrrev_i32_e32 v4, 31, v3
	v_cndmask_b32_e32 v16, v2, v5, vcc_lo
	v_cmp_gt_i32_e32 vcc_lo, 32, v14
	s_addc_u32 s12, s17, s9
	s_add_i32 s9, s8, s10
	s_mul_i32 s8, s46, s6
	v_lshlrev_b64 v[4:5], 2, v[3:4]
	s_lshl_b64 s[8:9], s[8:9], 2
	s_mul_i32 s10, s23, s7
	s_add_u32 s8, s11, s8
	s_mul_hi_u32 s11, s22, s7
	v_cndmask_b32_e32 v2, v2, v14, vcc_lo
	s_addc_u32 s9, s12, s9
	s_add_i32 s11, s11, s10
	s_mul_i32 s1, s1, s6
	s_mul_hi_u32 s10, s0, s6
	v_lshlrev_b32_e32 v14, 2, v15
	s_add_i32 s1, s10, s1
	v_lshlrev_b32_e32 v15, 2, v16
	v_lshlrev_b32_e32 v16, 2, v2
	v_add_co_u32 v2, vcc_lo, s8, v4
	s_add_u32 s12, s24, s4
	s_mul_i32 s7, s22, s7
	s_mul_i32 s10, s0, s6
	v_add_co_ci_u32_e64 v3, null, s9, v5, vcc_lo
	s_addc_u32 s13, s25, s5
	v_add_co_u32 v4, vcc_lo, s12, v4
	s_lshl_b64 s[4:5], s[26:27], 9
	s_lshl_b64 s[8:9], s[42:43], 2
	v_lshlrev_b32_e32 v13, 2, v13
	v_cmp_eq_u32_e64 s0, 0, v0
	s_add_u32 s10, s7, s10
	v_add_co_ci_u32_e64 v5, null, s13, v5, vcc_lo
	s_addc_u32 s11, s11, s1
	s_lshl_b64 s[2:3], s[2:3], 2
	s_lshl_b64 s[10:11], s[10:11], 2
	;; [unrolled: 1-line block ×3, first 2 shown]
	s_mov_b64 s[14:15], 0
	s_branch .LBB15_3
.LBB15_2:                               ;   in Loop: Header=BB15_3 Depth=1
	s_or_b32 exec_lo, exec_lo, s1
	s_add_u32 s14, s14, 1
	s_addc_u32 s15, s15, 0
	v_add_co_u32 v4, vcc_lo, v4, s4
	v_cmp_le_i64_e64 s1, s[36:37], s[14:15]
	v_add_co_ci_u32_e64 v5, null, s5, v5, vcc_lo
	s_add_u32 s31, s31, s8
	v_add_co_u32 v2, vcc_lo, v2, s12
	s_addc_u32 s33, s33, s9
	s_add_u32 s10, s10, s2
	v_add_co_ci_u32_e64 v3, null, s13, v3, vcc_lo
	s_addc_u32 s11, s11, s3
	s_add_u32 s34, s34, s8
	s_addc_u32 s35, s35, s9
	s_and_b32 vcc_lo, exec_lo, s1
	s_cbranch_vccnz .LBB15_5
.LBB15_3:                               ; =>This Inner Loop Header: Depth=1
	v_add_co_u32 v17, s1, s34, v10
	s_waitcnt lgkmcnt(0)
	v_add_co_ci_u32_e64 v18, null, s35, 0, s1
	s_add_u32 s16, s20, s10
	s_addc_u32 s17, s21, s11
	s_add_u32 s22, s18, s10
	s_clause 0x3
	global_load_dword v19, v[17:18], off
	global_load_dword v20, v[17:18], off offset:128
	global_load_dword v21, v[17:18], off offset:256
	;; [unrolled: 1-line block ×3, first 2 shown]
	s_addc_u32 s23, s19, s11
	global_load_dword v23, v11, s[22:23]
	global_load_dword v24, v[2:3], off
	global_load_dword v25, v11, s[16:17]
	v_add_co_u32 v17, s1, s31, v10
	v_add_co_ci_u32_e64 v18, null, s33, 0, s1
	s_clause 0x3
	global_load_dword v26, v[17:18], off
	global_load_dword v27, v[17:18], off offset:128
	global_load_dword v28, v[17:18], off offset:256
	;; [unrolled: 1-line block ×3, first 2 shown]
	s_waitcnt vmcnt(14)
	v_mov_b32_e32 v18, v6
	s_waitcnt vmcnt(13)
	v_mov_b32_e32 v29, v7
	;; [unrolled: 2-line block ×4, first 2 shown]
	s_waitcnt vmcnt(10)
	v_fma_f32 v6, v18, v19, 0
	s_waitcnt vmcnt(6)
	v_mul_f32_e32 v8, 0x3fb8aa3b, v23
	v_fmac_f32_e32 v6, v29, v20
	v_cmp_ngt_f32_e32 vcc_lo, 0xc2ce8ed0, v23
	v_fma_f32 v9, 0x3fb8aa3b, v23, -v8
	v_fmac_f32_e32 v6, v30, v21
	v_rndne_f32_e32 v32, v8
	v_fmac_f32_e32 v9, 0x32a5705f, v23
	v_fmac_f32_e32 v6, v31, v22
	v_sub_f32_e32 v8, v8, v32
	ds_bpermute_b32 v7, v12, v6
	v_add_f32_e32 v8, v8, v9
	v_cvt_i32_f32_e32 v9, v32
	s_waitcnt lgkmcnt(0)
	v_add_f32_e32 v6, v6, v7
	ds_bpermute_b32 v7, v13, v6
	s_waitcnt lgkmcnt(0)
	v_add_f32_e32 v6, v6, v7
	ds_bpermute_b32 v7, v14, v6
	;; [unrolled: 3-line block ×3, first 2 shown]
	s_waitcnt lgkmcnt(0)
	v_add_f32_e32 v6, v6, v7
	v_exp_f32_e32 v7, v8
	ds_bpermute_b32 v8, v16, v6
	v_ldexp_f32 v7, v7, v9
	v_cndmask_b32_e32 v7, 0, v7, vcc_lo
	v_cmp_nlt_f32_e32 vcc_lo, 0x42b17218, v23
	v_cndmask_b32_e32 v23, 0x7f800000, v7, vcc_lo
	s_waitcnt lgkmcnt(0)
	v_add_f32_e32 v6, v6, v8
	s_waitcnt vmcnt(5)
	v_fma_f32 v6, -v23, v6, v24
	s_waitcnt vmcnt(4)
	v_mul_f32_e32 v9, v25, v6
	v_mul_f32_e32 v6, v9, v19
	;; [unrolled: 1-line block ×5, first 2 shown]
	v_fmac_f32_e32 v6, v23, v18
	v_fmac_f32_e32 v7, v23, v29
	;; [unrolled: 1-line block ×4, first 2 shown]
	s_waitcnt vmcnt(3)
	v_fma_f32 v18, v26, v6, 0
	s_waitcnt vmcnt(2)
	v_fmac_f32_e32 v18, v27, v7
	s_waitcnt vmcnt(1)
	v_fmac_f32_e32 v18, v28, v8
	;; [unrolled: 2-line block ×3, first 2 shown]
	ds_bpermute_b32 v17, v12, v18
	s_waitcnt lgkmcnt(0)
	v_add_f32_e32 v17, v18, v17
	ds_bpermute_b32 v18, v13, v17
	s_waitcnt lgkmcnt(0)
	v_add_f32_e32 v17, v17, v18
	;; [unrolled: 3-line block ×4, first 2 shown]
	ds_bpermute_b32 v18, v16, v17
	s_and_saveexec_b32 s1, s0
	s_cbranch_execz .LBB15_2
; %bb.4:                                ;   in Loop: Header=BB15_3 Depth=1
	s_waitcnt lgkmcnt(0)
	v_add_f32_e32 v17, v17, v18
	v_mul_f32_e32 v17, s30, v17
	global_store_dword v[4:5], v17, off
	s_branch .LBB15_2
.LBB15_5:
	s_mul_i32 s0, s26, s37
	s_mul_hi_u32 s1, s26, s36
	s_mul_i32 s2, s26, s36
	s_add_i32 s0, s1, s0
	s_mul_i32 s1, s27, s36
	s_mul_i32 s3, s2, s39
	s_mul_hi_u32 s4, s2, s38
	s_add_i32 s0, s0, s1
	v_add_nc_u32_e32 v0, v1, v0
	s_add_i32 s1, s4, s3
	s_mul_i32 s0, s0, s38
	s_add_i32 s1, s1, s0
	s_mul_i32 s0, s2, s38
	v_ashrrev_i32_e32 v1, 31, v0
	s_lshl_b64 s[0:1], s[0:1], 9
	s_add_u32 s2, s24, s0
	s_addc_u32 s3, s25, s1
	s_add_u32 s0, s28, s6
	s_addc_u32 s1, s29, 0
	v_lshlrev_b64 v[0:1], 2, v[0:1]
	s_lshl_b64 s[0:1], s[0:1], 16
	s_add_u32 s0, s2, s0
	s_addc_u32 s1, s3, s1
	v_add_co_u32 v0, vcc_lo, s0, v0
	v_add_co_ci_u32_e64 v1, null, s1, v1, vcc_lo
	s_waitcnt vmcnt(3)
	global_store_dword v[0:1], v6, off
	s_waitcnt vmcnt(2)
	global_store_dword v[0:1], v7, off offset:128
	s_waitcnt vmcnt(1)
	global_store_dword v[0:1], v8, off offset:256
	s_waitcnt vmcnt(0)
	global_store_dword v[0:1], v9, off offset:384
	s_endpgm
	.section	.rodata,"a",@progbits
	.p2align	6, 0x0
	.amdhsa_kernel _Z20gated_delta_net_cudaILi128ELb0ELb0EEvPKfS1_S1_S1_S1_S1_Pfllllllllllll15HIP_vector_typeIjLj3EES4_fi
		.amdhsa_group_segment_fixed_size 0
		.amdhsa_private_segment_fixed_size 0
		.amdhsa_kernarg_size 440
		.amdhsa_user_sgpr_count 6
		.amdhsa_user_sgpr_private_segment_buffer 1
		.amdhsa_user_sgpr_dispatch_ptr 0
		.amdhsa_user_sgpr_queue_ptr 0
		.amdhsa_user_sgpr_kernarg_segment_ptr 1
		.amdhsa_user_sgpr_dispatch_id 0
		.amdhsa_user_sgpr_flat_scratch_init 0
		.amdhsa_user_sgpr_private_segment_size 0
		.amdhsa_wavefront_size32 1
		.amdhsa_uses_dynamic_stack 0
		.amdhsa_system_sgpr_private_segment_wavefront_offset 0
		.amdhsa_system_sgpr_workgroup_id_x 1
		.amdhsa_system_sgpr_workgroup_id_y 1
		.amdhsa_system_sgpr_workgroup_id_z 1
		.amdhsa_system_sgpr_workgroup_info 0
		.amdhsa_system_vgpr_workitem_id 1
		.amdhsa_next_free_vgpr 33
		.amdhsa_next_free_sgpr 52
		.amdhsa_reserve_vcc 1
		.amdhsa_reserve_flat_scratch 0
		.amdhsa_float_round_mode_32 0
		.amdhsa_float_round_mode_16_64 0
		.amdhsa_float_denorm_mode_32 3
		.amdhsa_float_denorm_mode_16_64 3
		.amdhsa_dx10_clamp 1
		.amdhsa_ieee_mode 1
		.amdhsa_fp16_overflow 0
		.amdhsa_workgroup_processor_mode 1
		.amdhsa_memory_ordered 1
		.amdhsa_forward_progress 1
		.amdhsa_shared_vgpr_count 0
		.amdhsa_exception_fp_ieee_invalid_op 0
		.amdhsa_exception_fp_denorm_src 0
		.amdhsa_exception_fp_ieee_div_zero 0
		.amdhsa_exception_fp_ieee_overflow 0
		.amdhsa_exception_fp_ieee_underflow 0
		.amdhsa_exception_fp_ieee_inexact 0
		.amdhsa_exception_int_div_zero 0
	.end_amdhsa_kernel
	.section	.text._Z20gated_delta_net_cudaILi128ELb0ELb0EEvPKfS1_S1_S1_S1_S1_Pfllllllllllll15HIP_vector_typeIjLj3EES4_fi,"axG",@progbits,_Z20gated_delta_net_cudaILi128ELb0ELb0EEvPKfS1_S1_S1_S1_S1_Pfllllllllllll15HIP_vector_typeIjLj3EES4_fi,comdat
.Lfunc_end15:
	.size	_Z20gated_delta_net_cudaILi128ELb0ELb0EEvPKfS1_S1_S1_S1_S1_Pfllllllllllll15HIP_vector_typeIjLj3EES4_fi, .Lfunc_end15-_Z20gated_delta_net_cudaILi128ELb0ELb0EEvPKfS1_S1_S1_S1_S1_Pfllllllllllll15HIP_vector_typeIjLj3EES4_fi
                                        ; -- End function
	.set _Z20gated_delta_net_cudaILi128ELb0ELb0EEvPKfS1_S1_S1_S1_S1_Pfllllllllllll15HIP_vector_typeIjLj3EES4_fi.num_vgpr, 33
	.set _Z20gated_delta_net_cudaILi128ELb0ELb0EEvPKfS1_S1_S1_S1_S1_Pfllllllllllll15HIP_vector_typeIjLj3EES4_fi.num_agpr, 0
	.set _Z20gated_delta_net_cudaILi128ELb0ELb0EEvPKfS1_S1_S1_S1_S1_Pfllllllllllll15HIP_vector_typeIjLj3EES4_fi.numbered_sgpr, 52
	.set _Z20gated_delta_net_cudaILi128ELb0ELb0EEvPKfS1_S1_S1_S1_S1_Pfllllllllllll15HIP_vector_typeIjLj3EES4_fi.num_named_barrier, 0
	.set _Z20gated_delta_net_cudaILi128ELb0ELb0EEvPKfS1_S1_S1_S1_S1_Pfllllllllllll15HIP_vector_typeIjLj3EES4_fi.private_seg_size, 0
	.set _Z20gated_delta_net_cudaILi128ELb0ELb0EEvPKfS1_S1_S1_S1_S1_Pfllllllllllll15HIP_vector_typeIjLj3EES4_fi.uses_vcc, 1
	.set _Z20gated_delta_net_cudaILi128ELb0ELb0EEvPKfS1_S1_S1_S1_S1_Pfllllllllllll15HIP_vector_typeIjLj3EES4_fi.uses_flat_scratch, 0
	.set _Z20gated_delta_net_cudaILi128ELb0ELb0EEvPKfS1_S1_S1_S1_S1_Pfllllllllllll15HIP_vector_typeIjLj3EES4_fi.has_dyn_sized_stack, 0
	.set _Z20gated_delta_net_cudaILi128ELb0ELb0EEvPKfS1_S1_S1_S1_S1_Pfllllllllllll15HIP_vector_typeIjLj3EES4_fi.has_recursion, 0
	.set _Z20gated_delta_net_cudaILi128ELb0ELb0EEvPKfS1_S1_S1_S1_S1_Pfllllllllllll15HIP_vector_typeIjLj3EES4_fi.has_indirect_call, 0
	.section	.AMDGPU.csdata,"",@progbits
; Kernel info:
; codeLenInByte = 1472
; TotalNumSgprs: 54
; NumVgprs: 33
; ScratchSize: 0
; MemoryBound: 0
; FloatMode: 240
; IeeeMode: 1
; LDSByteSize: 0 bytes/workgroup (compile time only)
; SGPRBlocks: 0
; VGPRBlocks: 4
; NumSGPRsForWavesPerEU: 54
; NumVGPRsForWavesPerEU: 33
; Occupancy: 16
; WaveLimiterHint : 1
; COMPUTE_PGM_RSRC2:SCRATCH_EN: 0
; COMPUTE_PGM_RSRC2:USER_SGPR: 6
; COMPUTE_PGM_RSRC2:TRAP_HANDLER: 0
; COMPUTE_PGM_RSRC2:TGID_X_EN: 1
; COMPUTE_PGM_RSRC2:TGID_Y_EN: 1
; COMPUTE_PGM_RSRC2:TGID_Z_EN: 1
; COMPUTE_PGM_RSRC2:TIDIG_COMP_CNT: 1
	.section	.AMDGPU.gpr_maximums,"",@progbits
	.set amdgpu.max_num_vgpr, 0
	.set amdgpu.max_num_agpr, 0
	.set amdgpu.max_num_sgpr, 0
	.section	.AMDGPU.csdata,"",@progbits
	.type	__hip_cuid_5a821d142522f0fe,@object ; @__hip_cuid_5a821d142522f0fe
	.section	.bss,"aw",@nobits
	.globl	__hip_cuid_5a821d142522f0fe
__hip_cuid_5a821d142522f0fe:
	.byte	0                               ; 0x0
	.size	__hip_cuid_5a821d142522f0fe, 1

	.ident	"AMD clang version 22.0.0git (https://github.com/RadeonOpenCompute/llvm-project roc-7.2.4 26084 f58b06dce1f9c15707c5f808fd002e18c2accf7e)"
	.section	".note.GNU-stack","",@progbits
	.addrsig
	.addrsig_sym __hip_cuid_5a821d142522f0fe
	.amdgpu_metadata
---
amdhsa.kernels:
  - .args:
      - .address_space:  global
        .offset:         0
        .size:           8
        .value_kind:     global_buffer
      - .address_space:  global
        .offset:         8
        .size:           8
        .value_kind:     global_buffer
      - .address_space:  global
        .offset:         16
        .size:           8
        .value_kind:     global_buffer
      - .address_space:  global
        .offset:         24
        .size:           8
        .value_kind:     global_buffer
      - .address_space:  global
        .offset:         32
        .size:           8
        .value_kind:     global_buffer
      - .address_space:  global
        .offset:         40
        .size:           8
        .value_kind:     global_buffer
      - .address_space:  global
        .offset:         48
        .size:           8
        .value_kind:     global_buffer
      - .offset:         56
        .size:           8
        .value_kind:     by_value
      - .offset:         64
        .size:           8
        .value_kind:     by_value
      - .offset:         72
        .size:           8
        .value_kind:     by_value
      - .offset:         80
        .size:           8
        .value_kind:     by_value
      - .offset:         88
        .size:           8
        .value_kind:     by_value
      - .offset:         96
        .size:           8
        .value_kind:     by_value
      - .offset:         104
        .size:           8
        .value_kind:     by_value
      - .offset:         112
        .size:           8
        .value_kind:     by_value
      - .offset:         120
        .size:           8
        .value_kind:     by_value
      - .offset:         128
        .size:           8
        .value_kind:     by_value
      - .offset:         136
        .size:           8
        .value_kind:     by_value
      - .offset:         144
        .size:           8
        .value_kind:     by_value
      - .offset:         152
        .size:           12
        .value_kind:     by_value
      - .offset:         164
        .size:           12
        .value_kind:     by_value
      - .offset:         176
        .size:           4
        .value_kind:     by_value
      - .offset:         180
        .size:           4
        .value_kind:     by_value
      - .offset:         184
        .size:           4
        .value_kind:     hidden_block_count_x
      - .offset:         188
        .size:           4
        .value_kind:     hidden_block_count_y
      - .offset:         192
        .size:           4
        .value_kind:     hidden_block_count_z
      - .offset:         196
        .size:           2
        .value_kind:     hidden_group_size_x
      - .offset:         198
        .size:           2
        .value_kind:     hidden_group_size_y
      - .offset:         200
        .size:           2
        .value_kind:     hidden_group_size_z
      - .offset:         202
        .size:           2
        .value_kind:     hidden_remainder_x
      - .offset:         204
        .size:           2
        .value_kind:     hidden_remainder_y
      - .offset:         206
        .size:           2
        .value_kind:     hidden_remainder_z
      - .offset:         224
        .size:           8
        .value_kind:     hidden_global_offset_x
      - .offset:         232
        .size:           8
        .value_kind:     hidden_global_offset_y
      - .offset:         240
        .size:           8
        .value_kind:     hidden_global_offset_z
      - .offset:         248
        .size:           2
        .value_kind:     hidden_grid_dims
    .group_segment_fixed_size: 0
    .kernarg_segment_align: 8
    .kernarg_segment_size: 440
    .language:       OpenCL C
    .language_version:
      - 2
      - 0
    .max_flat_workgroup_size: 64
    .name:           _Z20gated_delta_net_cudaILi16ELb1ELb1EEvPKfS1_S1_S1_S1_S1_Pfllllllllllll15HIP_vector_typeIjLj3EES4_fi
    .private_segment_fixed_size: 0
    .sgpr_count:     58
    .sgpr_spill_count: 0
    .symbol:         _Z20gated_delta_net_cudaILi16ELb1ELb1EEvPKfS1_S1_S1_S1_S1_Pfllllllllllll15HIP_vector_typeIjLj3EES4_fi.kd
    .uniform_work_group_size: 1
    .uses_dynamic_stack: false
    .vgpr_count:     24
    .vgpr_spill_count: 0
    .wavefront_size: 32
    .workgroup_processor_mode: 1
  - .args:
      - .address_space:  global
        .offset:         0
        .size:           8
        .value_kind:     global_buffer
      - .address_space:  global
        .offset:         8
        .size:           8
        .value_kind:     global_buffer
      - .address_space:  global
        .offset:         16
        .size:           8
        .value_kind:     global_buffer
      - .address_space:  global
        .offset:         24
        .size:           8
        .value_kind:     global_buffer
      - .address_space:  global
        .offset:         32
        .size:           8
        .value_kind:     global_buffer
      - .address_space:  global
        .offset:         40
        .size:           8
        .value_kind:     global_buffer
      - .address_space:  global
        .offset:         48
        .size:           8
        .value_kind:     global_buffer
      - .offset:         56
        .size:           8
        .value_kind:     by_value
      - .offset:         64
        .size:           8
        .value_kind:     by_value
      - .offset:         72
        .size:           8
        .value_kind:     by_value
      - .offset:         80
        .size:           8
        .value_kind:     by_value
      - .offset:         88
        .size:           8
        .value_kind:     by_value
      - .offset:         96
        .size:           8
        .value_kind:     by_value
      - .offset:         104
        .size:           8
        .value_kind:     by_value
      - .offset:         112
        .size:           8
        .value_kind:     by_value
      - .offset:         120
        .size:           8
        .value_kind:     by_value
      - .offset:         128
        .size:           8
        .value_kind:     by_value
      - .offset:         136
        .size:           8
        .value_kind:     by_value
      - .offset:         144
        .size:           8
        .value_kind:     by_value
      - .offset:         152
        .size:           12
        .value_kind:     by_value
      - .offset:         164
        .size:           12
        .value_kind:     by_value
      - .offset:         176
        .size:           4
        .value_kind:     by_value
      - .offset:         180
        .size:           4
        .value_kind:     by_value
      - .offset:         184
        .size:           4
        .value_kind:     hidden_block_count_x
      - .offset:         188
        .size:           4
        .value_kind:     hidden_block_count_y
      - .offset:         192
        .size:           4
        .value_kind:     hidden_block_count_z
      - .offset:         196
        .size:           2
        .value_kind:     hidden_group_size_x
      - .offset:         198
        .size:           2
        .value_kind:     hidden_group_size_y
      - .offset:         200
        .size:           2
        .value_kind:     hidden_group_size_z
      - .offset:         202
        .size:           2
        .value_kind:     hidden_remainder_x
      - .offset:         204
        .size:           2
        .value_kind:     hidden_remainder_y
      - .offset:         206
        .size:           2
        .value_kind:     hidden_remainder_z
      - .offset:         224
        .size:           8
        .value_kind:     hidden_global_offset_x
      - .offset:         232
        .size:           8
        .value_kind:     hidden_global_offset_y
      - .offset:         240
        .size:           8
        .value_kind:     hidden_global_offset_z
      - .offset:         248
        .size:           2
        .value_kind:     hidden_grid_dims
    .group_segment_fixed_size: 0
    .kernarg_segment_align: 8
    .kernarg_segment_size: 440
    .language:       OpenCL C
    .language_version:
      - 2
      - 0
    .max_flat_workgroup_size: 128
    .name:           _Z20gated_delta_net_cudaILi32ELb1ELb1EEvPKfS1_S1_S1_S1_S1_Pfllllllllllll15HIP_vector_typeIjLj3EES4_fi
    .private_segment_fixed_size: 0
    .sgpr_count:     58
    .sgpr_spill_count: 0
    .symbol:         _Z20gated_delta_net_cudaILi32ELb1ELb1EEvPKfS1_S1_S1_S1_S1_Pfllllllllllll15HIP_vector_typeIjLj3EES4_fi.kd
    .uniform_work_group_size: 1
    .uses_dynamic_stack: false
    .vgpr_count:     25
    .vgpr_spill_count: 0
    .wavefront_size: 32
    .workgroup_processor_mode: 1
  - .args:
      - .address_space:  global
        .offset:         0
        .size:           8
        .value_kind:     global_buffer
      - .address_space:  global
        .offset:         8
        .size:           8
        .value_kind:     global_buffer
      - .address_space:  global
        .offset:         16
        .size:           8
        .value_kind:     global_buffer
      - .address_space:  global
        .offset:         24
        .size:           8
        .value_kind:     global_buffer
      - .address_space:  global
        .offset:         32
        .size:           8
        .value_kind:     global_buffer
      - .address_space:  global
        .offset:         40
        .size:           8
        .value_kind:     global_buffer
      - .address_space:  global
        .offset:         48
        .size:           8
        .value_kind:     global_buffer
      - .offset:         56
        .size:           8
        .value_kind:     by_value
      - .offset:         64
        .size:           8
        .value_kind:     by_value
      - .offset:         72
        .size:           8
        .value_kind:     by_value
      - .offset:         80
        .size:           8
        .value_kind:     by_value
      - .offset:         88
        .size:           8
        .value_kind:     by_value
      - .offset:         96
        .size:           8
        .value_kind:     by_value
      - .offset:         104
        .size:           8
        .value_kind:     by_value
      - .offset:         112
        .size:           8
        .value_kind:     by_value
      - .offset:         120
        .size:           8
        .value_kind:     by_value
      - .offset:         128
        .size:           8
        .value_kind:     by_value
      - .offset:         136
        .size:           8
        .value_kind:     by_value
      - .offset:         144
        .size:           8
        .value_kind:     by_value
      - .offset:         152
        .size:           12
        .value_kind:     by_value
      - .offset:         164
        .size:           12
        .value_kind:     by_value
      - .offset:         176
        .size:           4
        .value_kind:     by_value
      - .offset:         180
        .size:           4
        .value_kind:     by_value
      - .offset:         184
        .size:           4
        .value_kind:     hidden_block_count_x
      - .offset:         188
        .size:           4
        .value_kind:     hidden_block_count_y
      - .offset:         192
        .size:           4
        .value_kind:     hidden_block_count_z
      - .offset:         196
        .size:           2
        .value_kind:     hidden_group_size_x
      - .offset:         198
        .size:           2
        .value_kind:     hidden_group_size_y
      - .offset:         200
        .size:           2
        .value_kind:     hidden_group_size_z
      - .offset:         202
        .size:           2
        .value_kind:     hidden_remainder_x
      - .offset:         204
        .size:           2
        .value_kind:     hidden_remainder_y
      - .offset:         206
        .size:           2
        .value_kind:     hidden_remainder_z
      - .offset:         224
        .size:           8
        .value_kind:     hidden_global_offset_x
      - .offset:         232
        .size:           8
        .value_kind:     hidden_global_offset_y
      - .offset:         240
        .size:           8
        .value_kind:     hidden_global_offset_z
      - .offset:         248
        .size:           2
        .value_kind:     hidden_grid_dims
    .group_segment_fixed_size: 0
    .kernarg_segment_align: 8
    .kernarg_segment_size: 440
    .language:       OpenCL C
    .language_version:
      - 2
      - 0
    .max_flat_workgroup_size: 128
    .name:           _Z20gated_delta_net_cudaILi64ELb1ELb1EEvPKfS1_S1_S1_S1_S1_Pfllllllllllll15HIP_vector_typeIjLj3EES4_fi
    .private_segment_fixed_size: 0
    .sgpr_count:     56
    .sgpr_spill_count: 0
    .symbol:         _Z20gated_delta_net_cudaILi64ELb1ELb1EEvPKfS1_S1_S1_S1_S1_Pfllllllllllll15HIP_vector_typeIjLj3EES4_fi.kd
    .uniform_work_group_size: 1
    .uses_dynamic_stack: false
    .vgpr_count:     32
    .vgpr_spill_count: 0
    .wavefront_size: 32
    .workgroup_processor_mode: 1
  - .args:
      - .address_space:  global
        .offset:         0
        .size:           8
        .value_kind:     global_buffer
      - .address_space:  global
        .offset:         8
        .size:           8
        .value_kind:     global_buffer
      - .address_space:  global
        .offset:         16
        .size:           8
        .value_kind:     global_buffer
      - .address_space:  global
        .offset:         24
        .size:           8
        .value_kind:     global_buffer
      - .address_space:  global
        .offset:         32
        .size:           8
        .value_kind:     global_buffer
      - .address_space:  global
        .offset:         40
        .size:           8
        .value_kind:     global_buffer
      - .address_space:  global
        .offset:         48
        .size:           8
        .value_kind:     global_buffer
      - .offset:         56
        .size:           8
        .value_kind:     by_value
      - .offset:         64
        .size:           8
        .value_kind:     by_value
      - .offset:         72
        .size:           8
        .value_kind:     by_value
      - .offset:         80
        .size:           8
        .value_kind:     by_value
      - .offset:         88
        .size:           8
        .value_kind:     by_value
      - .offset:         96
        .size:           8
        .value_kind:     by_value
      - .offset:         104
        .size:           8
        .value_kind:     by_value
      - .offset:         112
        .size:           8
        .value_kind:     by_value
      - .offset:         120
        .size:           8
        .value_kind:     by_value
      - .offset:         128
        .size:           8
        .value_kind:     by_value
      - .offset:         136
        .size:           8
        .value_kind:     by_value
      - .offset:         144
        .size:           8
        .value_kind:     by_value
      - .offset:         152
        .size:           12
        .value_kind:     by_value
      - .offset:         164
        .size:           12
        .value_kind:     by_value
      - .offset:         176
        .size:           4
        .value_kind:     by_value
      - .offset:         180
        .size:           4
        .value_kind:     by_value
      - .offset:         184
        .size:           4
        .value_kind:     hidden_block_count_x
      - .offset:         188
        .size:           4
        .value_kind:     hidden_block_count_y
      - .offset:         192
        .size:           4
        .value_kind:     hidden_block_count_z
      - .offset:         196
        .size:           2
        .value_kind:     hidden_group_size_x
      - .offset:         198
        .size:           2
        .value_kind:     hidden_group_size_y
      - .offset:         200
        .size:           2
        .value_kind:     hidden_group_size_z
      - .offset:         202
        .size:           2
        .value_kind:     hidden_remainder_x
      - .offset:         204
        .size:           2
        .value_kind:     hidden_remainder_y
      - .offset:         206
        .size:           2
        .value_kind:     hidden_remainder_z
      - .offset:         224
        .size:           8
        .value_kind:     hidden_global_offset_x
      - .offset:         232
        .size:           8
        .value_kind:     hidden_global_offset_y
      - .offset:         240
        .size:           8
        .value_kind:     hidden_global_offset_z
      - .offset:         248
        .size:           2
        .value_kind:     hidden_grid_dims
    .group_segment_fixed_size: 0
    .kernarg_segment_align: 8
    .kernarg_segment_size: 440
    .language:       OpenCL C
    .language_version:
      - 2
      - 0
    .max_flat_workgroup_size: 128
    .name:           _Z20gated_delta_net_cudaILi128ELb1ELb1EEvPKfS1_S1_S1_S1_S1_Pfllllllllllll15HIP_vector_typeIjLj3EES4_fi
    .private_segment_fixed_size: 0
    .sgpr_count:     57
    .sgpr_spill_count: 0
    .symbol:         _Z20gated_delta_net_cudaILi128ELb1ELb1EEvPKfS1_S1_S1_S1_S1_Pfllllllllllll15HIP_vector_typeIjLj3EES4_fi.kd
    .uniform_work_group_size: 1
    .uses_dynamic_stack: false
    .vgpr_count:     43
    .vgpr_spill_count: 0
    .wavefront_size: 32
    .workgroup_processor_mode: 1
  - .args:
      - .address_space:  global
        .offset:         0
        .size:           8
        .value_kind:     global_buffer
      - .address_space:  global
        .offset:         8
        .size:           8
        .value_kind:     global_buffer
      - .address_space:  global
        .offset:         16
        .size:           8
        .value_kind:     global_buffer
      - .address_space:  global
        .offset:         24
        .size:           8
        .value_kind:     global_buffer
      - .address_space:  global
        .offset:         32
        .size:           8
        .value_kind:     global_buffer
      - .address_space:  global
        .offset:         40
        .size:           8
        .value_kind:     global_buffer
      - .address_space:  global
        .offset:         48
        .size:           8
        .value_kind:     global_buffer
      - .offset:         56
        .size:           8
        .value_kind:     by_value
      - .offset:         64
        .size:           8
        .value_kind:     by_value
      - .offset:         72
        .size:           8
        .value_kind:     by_value
      - .offset:         80
        .size:           8
        .value_kind:     by_value
      - .offset:         88
        .size:           8
        .value_kind:     by_value
      - .offset:         96
        .size:           8
        .value_kind:     by_value
      - .offset:         104
        .size:           8
        .value_kind:     by_value
      - .offset:         112
        .size:           8
        .value_kind:     by_value
      - .offset:         120
        .size:           8
        .value_kind:     by_value
      - .offset:         128
        .size:           8
        .value_kind:     by_value
      - .offset:         136
        .size:           8
        .value_kind:     by_value
      - .offset:         144
        .size:           8
        .value_kind:     by_value
      - .offset:         152
        .size:           12
        .value_kind:     by_value
      - .offset:         164
        .size:           12
        .value_kind:     by_value
      - .offset:         176
        .size:           4
        .value_kind:     by_value
      - .offset:         180
        .size:           4
        .value_kind:     by_value
      - .offset:         184
        .size:           4
        .value_kind:     hidden_block_count_x
      - .offset:         188
        .size:           4
        .value_kind:     hidden_block_count_y
      - .offset:         192
        .size:           4
        .value_kind:     hidden_block_count_z
      - .offset:         196
        .size:           2
        .value_kind:     hidden_group_size_x
      - .offset:         198
        .size:           2
        .value_kind:     hidden_group_size_y
      - .offset:         200
        .size:           2
        .value_kind:     hidden_group_size_z
      - .offset:         202
        .size:           2
        .value_kind:     hidden_remainder_x
      - .offset:         204
        .size:           2
        .value_kind:     hidden_remainder_y
      - .offset:         206
        .size:           2
        .value_kind:     hidden_remainder_z
      - .offset:         224
        .size:           8
        .value_kind:     hidden_global_offset_x
      - .offset:         232
        .size:           8
        .value_kind:     hidden_global_offset_y
      - .offset:         240
        .size:           8
        .value_kind:     hidden_global_offset_z
      - .offset:         248
        .size:           2
        .value_kind:     hidden_grid_dims
    .group_segment_fixed_size: 0
    .kernarg_segment_align: 8
    .kernarg_segment_size: 440
    .language:       OpenCL C
    .language_version:
      - 2
      - 0
    .max_flat_workgroup_size: 64
    .name:           _Z20gated_delta_net_cudaILi16ELb1ELb0EEvPKfS1_S1_S1_S1_S1_Pfllllllllllll15HIP_vector_typeIjLj3EES4_fi
    .private_segment_fixed_size: 0
    .sgpr_count:     55
    .sgpr_spill_count: 0
    .symbol:         _Z20gated_delta_net_cudaILi16ELb1ELb0EEvPKfS1_S1_S1_S1_S1_Pfllllllllllll15HIP_vector_typeIjLj3EES4_fi.kd
    .uniform_work_group_size: 1
    .uses_dynamic_stack: false
    .vgpr_count:     24
    .vgpr_spill_count: 0
    .wavefront_size: 32
    .workgroup_processor_mode: 1
  - .args:
      - .address_space:  global
        .offset:         0
        .size:           8
        .value_kind:     global_buffer
      - .address_space:  global
        .offset:         8
        .size:           8
        .value_kind:     global_buffer
      - .address_space:  global
        .offset:         16
        .size:           8
        .value_kind:     global_buffer
      - .address_space:  global
        .offset:         24
        .size:           8
        .value_kind:     global_buffer
      - .address_space:  global
        .offset:         32
        .size:           8
        .value_kind:     global_buffer
      - .address_space:  global
        .offset:         40
        .size:           8
        .value_kind:     global_buffer
      - .address_space:  global
        .offset:         48
        .size:           8
        .value_kind:     global_buffer
      - .offset:         56
        .size:           8
        .value_kind:     by_value
      - .offset:         64
        .size:           8
        .value_kind:     by_value
      - .offset:         72
        .size:           8
        .value_kind:     by_value
      - .offset:         80
        .size:           8
        .value_kind:     by_value
      - .offset:         88
        .size:           8
        .value_kind:     by_value
      - .offset:         96
        .size:           8
        .value_kind:     by_value
      - .offset:         104
        .size:           8
        .value_kind:     by_value
      - .offset:         112
        .size:           8
        .value_kind:     by_value
      - .offset:         120
        .size:           8
        .value_kind:     by_value
      - .offset:         128
        .size:           8
        .value_kind:     by_value
      - .offset:         136
        .size:           8
        .value_kind:     by_value
      - .offset:         144
        .size:           8
        .value_kind:     by_value
      - .offset:         152
        .size:           12
        .value_kind:     by_value
      - .offset:         164
        .size:           12
        .value_kind:     by_value
      - .offset:         176
        .size:           4
        .value_kind:     by_value
      - .offset:         180
        .size:           4
        .value_kind:     by_value
      - .offset:         184
        .size:           4
        .value_kind:     hidden_block_count_x
      - .offset:         188
        .size:           4
        .value_kind:     hidden_block_count_y
      - .offset:         192
        .size:           4
        .value_kind:     hidden_block_count_z
      - .offset:         196
        .size:           2
        .value_kind:     hidden_group_size_x
      - .offset:         198
        .size:           2
        .value_kind:     hidden_group_size_y
      - .offset:         200
        .size:           2
        .value_kind:     hidden_group_size_z
      - .offset:         202
        .size:           2
        .value_kind:     hidden_remainder_x
      - .offset:         204
        .size:           2
        .value_kind:     hidden_remainder_y
      - .offset:         206
        .size:           2
        .value_kind:     hidden_remainder_z
      - .offset:         224
        .size:           8
        .value_kind:     hidden_global_offset_x
      - .offset:         232
        .size:           8
        .value_kind:     hidden_global_offset_y
      - .offset:         240
        .size:           8
        .value_kind:     hidden_global_offset_z
      - .offset:         248
        .size:           2
        .value_kind:     hidden_grid_dims
    .group_segment_fixed_size: 0
    .kernarg_segment_align: 8
    .kernarg_segment_size: 440
    .language:       OpenCL C
    .language_version:
      - 2
      - 0
    .max_flat_workgroup_size: 128
    .name:           _Z20gated_delta_net_cudaILi32ELb1ELb0EEvPKfS1_S1_S1_S1_S1_Pfllllllllllll15HIP_vector_typeIjLj3EES4_fi
    .private_segment_fixed_size: 0
    .sgpr_count:     55
    .sgpr_spill_count: 0
    .symbol:         _Z20gated_delta_net_cudaILi32ELb1ELb0EEvPKfS1_S1_S1_S1_S1_Pfllllllllllll15HIP_vector_typeIjLj3EES4_fi.kd
    .uniform_work_group_size: 1
    .uses_dynamic_stack: false
    .vgpr_count:     25
    .vgpr_spill_count: 0
    .wavefront_size: 32
    .workgroup_processor_mode: 1
  - .args:
      - .address_space:  global
        .offset:         0
        .size:           8
        .value_kind:     global_buffer
      - .address_space:  global
        .offset:         8
        .size:           8
        .value_kind:     global_buffer
      - .address_space:  global
        .offset:         16
        .size:           8
        .value_kind:     global_buffer
      - .address_space:  global
        .offset:         24
        .size:           8
        .value_kind:     global_buffer
      - .address_space:  global
        .offset:         32
        .size:           8
        .value_kind:     global_buffer
      - .address_space:  global
        .offset:         40
        .size:           8
        .value_kind:     global_buffer
      - .address_space:  global
        .offset:         48
        .size:           8
        .value_kind:     global_buffer
      - .offset:         56
        .size:           8
        .value_kind:     by_value
      - .offset:         64
        .size:           8
        .value_kind:     by_value
      - .offset:         72
        .size:           8
        .value_kind:     by_value
      - .offset:         80
        .size:           8
        .value_kind:     by_value
      - .offset:         88
        .size:           8
        .value_kind:     by_value
      - .offset:         96
        .size:           8
        .value_kind:     by_value
      - .offset:         104
        .size:           8
        .value_kind:     by_value
      - .offset:         112
        .size:           8
        .value_kind:     by_value
      - .offset:         120
        .size:           8
        .value_kind:     by_value
      - .offset:         128
        .size:           8
        .value_kind:     by_value
      - .offset:         136
        .size:           8
        .value_kind:     by_value
      - .offset:         144
        .size:           8
        .value_kind:     by_value
      - .offset:         152
        .size:           12
        .value_kind:     by_value
      - .offset:         164
        .size:           12
        .value_kind:     by_value
      - .offset:         176
        .size:           4
        .value_kind:     by_value
      - .offset:         180
        .size:           4
        .value_kind:     by_value
      - .offset:         184
        .size:           4
        .value_kind:     hidden_block_count_x
      - .offset:         188
        .size:           4
        .value_kind:     hidden_block_count_y
      - .offset:         192
        .size:           4
        .value_kind:     hidden_block_count_z
      - .offset:         196
        .size:           2
        .value_kind:     hidden_group_size_x
      - .offset:         198
        .size:           2
        .value_kind:     hidden_group_size_y
      - .offset:         200
        .size:           2
        .value_kind:     hidden_group_size_z
      - .offset:         202
        .size:           2
        .value_kind:     hidden_remainder_x
      - .offset:         204
        .size:           2
        .value_kind:     hidden_remainder_y
      - .offset:         206
        .size:           2
        .value_kind:     hidden_remainder_z
      - .offset:         224
        .size:           8
        .value_kind:     hidden_global_offset_x
      - .offset:         232
        .size:           8
        .value_kind:     hidden_global_offset_y
      - .offset:         240
        .size:           8
        .value_kind:     hidden_global_offset_z
      - .offset:         248
        .size:           2
        .value_kind:     hidden_grid_dims
    .group_segment_fixed_size: 0
    .kernarg_segment_align: 8
    .kernarg_segment_size: 440
    .language:       OpenCL C
    .language_version:
      - 2
      - 0
    .max_flat_workgroup_size: 128
    .name:           _Z20gated_delta_net_cudaILi64ELb1ELb0EEvPKfS1_S1_S1_S1_S1_Pfllllllllllll15HIP_vector_typeIjLj3EES4_fi
    .private_segment_fixed_size: 0
    .sgpr_count:     55
    .sgpr_spill_count: 0
    .symbol:         _Z20gated_delta_net_cudaILi64ELb1ELb0EEvPKfS1_S1_S1_S1_S1_Pfllllllllllll15HIP_vector_typeIjLj3EES4_fi.kd
    .uniform_work_group_size: 1
    .uses_dynamic_stack: false
    .vgpr_count:     32
    .vgpr_spill_count: 0
    .wavefront_size: 32
    .workgroup_processor_mode: 1
  - .args:
      - .address_space:  global
        .offset:         0
        .size:           8
        .value_kind:     global_buffer
      - .address_space:  global
        .offset:         8
        .size:           8
        .value_kind:     global_buffer
      - .address_space:  global
        .offset:         16
        .size:           8
        .value_kind:     global_buffer
      - .address_space:  global
        .offset:         24
        .size:           8
        .value_kind:     global_buffer
      - .address_space:  global
        .offset:         32
        .size:           8
        .value_kind:     global_buffer
      - .address_space:  global
        .offset:         40
        .size:           8
        .value_kind:     global_buffer
      - .address_space:  global
        .offset:         48
        .size:           8
        .value_kind:     global_buffer
      - .offset:         56
        .size:           8
        .value_kind:     by_value
      - .offset:         64
        .size:           8
        .value_kind:     by_value
      - .offset:         72
        .size:           8
        .value_kind:     by_value
      - .offset:         80
        .size:           8
        .value_kind:     by_value
      - .offset:         88
        .size:           8
        .value_kind:     by_value
      - .offset:         96
        .size:           8
        .value_kind:     by_value
      - .offset:         104
        .size:           8
        .value_kind:     by_value
      - .offset:         112
        .size:           8
        .value_kind:     by_value
      - .offset:         120
        .size:           8
        .value_kind:     by_value
      - .offset:         128
        .size:           8
        .value_kind:     by_value
      - .offset:         136
        .size:           8
        .value_kind:     by_value
      - .offset:         144
        .size:           8
        .value_kind:     by_value
      - .offset:         152
        .size:           12
        .value_kind:     by_value
      - .offset:         164
        .size:           12
        .value_kind:     by_value
      - .offset:         176
        .size:           4
        .value_kind:     by_value
      - .offset:         180
        .size:           4
        .value_kind:     by_value
      - .offset:         184
        .size:           4
        .value_kind:     hidden_block_count_x
      - .offset:         188
        .size:           4
        .value_kind:     hidden_block_count_y
      - .offset:         192
        .size:           4
        .value_kind:     hidden_block_count_z
      - .offset:         196
        .size:           2
        .value_kind:     hidden_group_size_x
      - .offset:         198
        .size:           2
        .value_kind:     hidden_group_size_y
      - .offset:         200
        .size:           2
        .value_kind:     hidden_group_size_z
      - .offset:         202
        .size:           2
        .value_kind:     hidden_remainder_x
      - .offset:         204
        .size:           2
        .value_kind:     hidden_remainder_y
      - .offset:         206
        .size:           2
        .value_kind:     hidden_remainder_z
      - .offset:         224
        .size:           8
        .value_kind:     hidden_global_offset_x
      - .offset:         232
        .size:           8
        .value_kind:     hidden_global_offset_y
      - .offset:         240
        .size:           8
        .value_kind:     hidden_global_offset_z
      - .offset:         248
        .size:           2
        .value_kind:     hidden_grid_dims
    .group_segment_fixed_size: 0
    .kernarg_segment_align: 8
    .kernarg_segment_size: 440
    .language:       OpenCL C
    .language_version:
      - 2
      - 0
    .max_flat_workgroup_size: 128
    .name:           _Z20gated_delta_net_cudaILi128ELb1ELb0EEvPKfS1_S1_S1_S1_S1_Pfllllllllllll15HIP_vector_typeIjLj3EES4_fi
    .private_segment_fixed_size: 0
    .sgpr_count:     54
    .sgpr_spill_count: 0
    .symbol:         _Z20gated_delta_net_cudaILi128ELb1ELb0EEvPKfS1_S1_S1_S1_S1_Pfllllllllllll15HIP_vector_typeIjLj3EES4_fi.kd
    .uniform_work_group_size: 1
    .uses_dynamic_stack: false
    .vgpr_count:     43
    .vgpr_spill_count: 0
    .wavefront_size: 32
    .workgroup_processor_mode: 1
  - .args:
      - .address_space:  global
        .offset:         0
        .size:           8
        .value_kind:     global_buffer
      - .address_space:  global
        .offset:         8
        .size:           8
        .value_kind:     global_buffer
      - .address_space:  global
        .offset:         16
        .size:           8
        .value_kind:     global_buffer
      - .address_space:  global
        .offset:         24
        .size:           8
        .value_kind:     global_buffer
      - .address_space:  global
        .offset:         32
        .size:           8
        .value_kind:     global_buffer
      - .address_space:  global
        .offset:         40
        .size:           8
        .value_kind:     global_buffer
      - .address_space:  global
        .offset:         48
        .size:           8
        .value_kind:     global_buffer
      - .offset:         56
        .size:           8
        .value_kind:     by_value
      - .offset:         64
        .size:           8
        .value_kind:     by_value
      - .offset:         72
        .size:           8
        .value_kind:     by_value
      - .offset:         80
        .size:           8
        .value_kind:     by_value
      - .offset:         88
        .size:           8
        .value_kind:     by_value
      - .offset:         96
        .size:           8
        .value_kind:     by_value
      - .offset:         104
        .size:           8
        .value_kind:     by_value
      - .offset:         112
        .size:           8
        .value_kind:     by_value
      - .offset:         120
        .size:           8
        .value_kind:     by_value
      - .offset:         128
        .size:           8
        .value_kind:     by_value
      - .offset:         136
        .size:           8
        .value_kind:     by_value
      - .offset:         144
        .size:           8
        .value_kind:     by_value
      - .offset:         152
        .size:           12
        .value_kind:     by_value
      - .offset:         164
        .size:           12
        .value_kind:     by_value
      - .offset:         176
        .size:           4
        .value_kind:     by_value
      - .offset:         180
        .size:           4
        .value_kind:     by_value
      - .offset:         184
        .size:           4
        .value_kind:     hidden_block_count_x
      - .offset:         188
        .size:           4
        .value_kind:     hidden_block_count_y
      - .offset:         192
        .size:           4
        .value_kind:     hidden_block_count_z
      - .offset:         196
        .size:           2
        .value_kind:     hidden_group_size_x
      - .offset:         198
        .size:           2
        .value_kind:     hidden_group_size_y
      - .offset:         200
        .size:           2
        .value_kind:     hidden_group_size_z
      - .offset:         202
        .size:           2
        .value_kind:     hidden_remainder_x
      - .offset:         204
        .size:           2
        .value_kind:     hidden_remainder_y
      - .offset:         206
        .size:           2
        .value_kind:     hidden_remainder_z
      - .offset:         224
        .size:           8
        .value_kind:     hidden_global_offset_x
      - .offset:         232
        .size:           8
        .value_kind:     hidden_global_offset_y
      - .offset:         240
        .size:           8
        .value_kind:     hidden_global_offset_z
      - .offset:         248
        .size:           2
        .value_kind:     hidden_grid_dims
    .group_segment_fixed_size: 0
    .kernarg_segment_align: 8
    .kernarg_segment_size: 440
    .language:       OpenCL C
    .language_version:
      - 2
      - 0
    .max_flat_workgroup_size: 64
    .name:           _Z20gated_delta_net_cudaILi16ELb0ELb1EEvPKfS1_S1_S1_S1_S1_Pfllllllllllll15HIP_vector_typeIjLj3EES4_fi
    .private_segment_fixed_size: 0
    .sgpr_count:     58
    .sgpr_spill_count: 0
    .symbol:         _Z20gated_delta_net_cudaILi16ELb0ELb1EEvPKfS1_S1_S1_S1_S1_Pfllllllllllll15HIP_vector_typeIjLj3EES4_fi.kd
    .uniform_work_group_size: 1
    .uses_dynamic_stack: false
    .vgpr_count:     24
    .vgpr_spill_count: 0
    .wavefront_size: 32
    .workgroup_processor_mode: 1
  - .args:
      - .address_space:  global
        .offset:         0
        .size:           8
        .value_kind:     global_buffer
      - .address_space:  global
        .offset:         8
        .size:           8
        .value_kind:     global_buffer
      - .address_space:  global
        .offset:         16
        .size:           8
        .value_kind:     global_buffer
      - .address_space:  global
        .offset:         24
        .size:           8
        .value_kind:     global_buffer
      - .address_space:  global
        .offset:         32
        .size:           8
        .value_kind:     global_buffer
      - .address_space:  global
        .offset:         40
        .size:           8
        .value_kind:     global_buffer
      - .address_space:  global
        .offset:         48
        .size:           8
        .value_kind:     global_buffer
      - .offset:         56
        .size:           8
        .value_kind:     by_value
      - .offset:         64
        .size:           8
        .value_kind:     by_value
      - .offset:         72
        .size:           8
        .value_kind:     by_value
      - .offset:         80
        .size:           8
        .value_kind:     by_value
      - .offset:         88
        .size:           8
        .value_kind:     by_value
      - .offset:         96
        .size:           8
        .value_kind:     by_value
      - .offset:         104
        .size:           8
        .value_kind:     by_value
      - .offset:         112
        .size:           8
        .value_kind:     by_value
      - .offset:         120
        .size:           8
        .value_kind:     by_value
      - .offset:         128
        .size:           8
        .value_kind:     by_value
      - .offset:         136
        .size:           8
        .value_kind:     by_value
      - .offset:         144
        .size:           8
        .value_kind:     by_value
      - .offset:         152
        .size:           12
        .value_kind:     by_value
      - .offset:         164
        .size:           12
        .value_kind:     by_value
      - .offset:         176
        .size:           4
        .value_kind:     by_value
      - .offset:         180
        .size:           4
        .value_kind:     by_value
      - .offset:         184
        .size:           4
        .value_kind:     hidden_block_count_x
      - .offset:         188
        .size:           4
        .value_kind:     hidden_block_count_y
      - .offset:         192
        .size:           4
        .value_kind:     hidden_block_count_z
      - .offset:         196
        .size:           2
        .value_kind:     hidden_group_size_x
      - .offset:         198
        .size:           2
        .value_kind:     hidden_group_size_y
      - .offset:         200
        .size:           2
        .value_kind:     hidden_group_size_z
      - .offset:         202
        .size:           2
        .value_kind:     hidden_remainder_x
      - .offset:         204
        .size:           2
        .value_kind:     hidden_remainder_y
      - .offset:         206
        .size:           2
        .value_kind:     hidden_remainder_z
      - .offset:         224
        .size:           8
        .value_kind:     hidden_global_offset_x
      - .offset:         232
        .size:           8
        .value_kind:     hidden_global_offset_y
      - .offset:         240
        .size:           8
        .value_kind:     hidden_global_offset_z
      - .offset:         248
        .size:           2
        .value_kind:     hidden_grid_dims
    .group_segment_fixed_size: 0
    .kernarg_segment_align: 8
    .kernarg_segment_size: 440
    .language:       OpenCL C
    .language_version:
      - 2
      - 0
    .max_flat_workgroup_size: 128
    .name:           _Z20gated_delta_net_cudaILi32ELb0ELb1EEvPKfS1_S1_S1_S1_S1_Pfllllllllllll15HIP_vector_typeIjLj3EES4_fi
    .private_segment_fixed_size: 0
    .sgpr_count:     58
    .sgpr_spill_count: 0
    .symbol:         _Z20gated_delta_net_cudaILi32ELb0ELb1EEvPKfS1_S1_S1_S1_S1_Pfllllllllllll15HIP_vector_typeIjLj3EES4_fi.kd
    .uniform_work_group_size: 1
    .uses_dynamic_stack: false
    .vgpr_count:     25
    .vgpr_spill_count: 0
    .wavefront_size: 32
    .workgroup_processor_mode: 1
  - .args:
      - .address_space:  global
        .offset:         0
        .size:           8
        .value_kind:     global_buffer
      - .address_space:  global
        .offset:         8
        .size:           8
        .value_kind:     global_buffer
      - .address_space:  global
        .offset:         16
        .size:           8
        .value_kind:     global_buffer
      - .address_space:  global
        .offset:         24
        .size:           8
        .value_kind:     global_buffer
      - .address_space:  global
        .offset:         32
        .size:           8
        .value_kind:     global_buffer
      - .address_space:  global
        .offset:         40
        .size:           8
        .value_kind:     global_buffer
      - .address_space:  global
        .offset:         48
        .size:           8
        .value_kind:     global_buffer
      - .offset:         56
        .size:           8
        .value_kind:     by_value
      - .offset:         64
        .size:           8
        .value_kind:     by_value
      - .offset:         72
        .size:           8
        .value_kind:     by_value
      - .offset:         80
        .size:           8
        .value_kind:     by_value
      - .offset:         88
        .size:           8
        .value_kind:     by_value
      - .offset:         96
        .size:           8
        .value_kind:     by_value
      - .offset:         104
        .size:           8
        .value_kind:     by_value
      - .offset:         112
        .size:           8
        .value_kind:     by_value
      - .offset:         120
        .size:           8
        .value_kind:     by_value
      - .offset:         128
        .size:           8
        .value_kind:     by_value
      - .offset:         136
        .size:           8
        .value_kind:     by_value
      - .offset:         144
        .size:           8
        .value_kind:     by_value
      - .offset:         152
        .size:           12
        .value_kind:     by_value
      - .offset:         164
        .size:           12
        .value_kind:     by_value
      - .offset:         176
        .size:           4
        .value_kind:     by_value
      - .offset:         180
        .size:           4
        .value_kind:     by_value
      - .offset:         184
        .size:           4
        .value_kind:     hidden_block_count_x
      - .offset:         188
        .size:           4
        .value_kind:     hidden_block_count_y
      - .offset:         192
        .size:           4
        .value_kind:     hidden_block_count_z
      - .offset:         196
        .size:           2
        .value_kind:     hidden_group_size_x
      - .offset:         198
        .size:           2
        .value_kind:     hidden_group_size_y
      - .offset:         200
        .size:           2
        .value_kind:     hidden_group_size_z
      - .offset:         202
        .size:           2
        .value_kind:     hidden_remainder_x
      - .offset:         204
        .size:           2
        .value_kind:     hidden_remainder_y
      - .offset:         206
        .size:           2
        .value_kind:     hidden_remainder_z
      - .offset:         224
        .size:           8
        .value_kind:     hidden_global_offset_x
      - .offset:         232
        .size:           8
        .value_kind:     hidden_global_offset_y
      - .offset:         240
        .size:           8
        .value_kind:     hidden_global_offset_z
      - .offset:         248
        .size:           2
        .value_kind:     hidden_grid_dims
    .group_segment_fixed_size: 0
    .kernarg_segment_align: 8
    .kernarg_segment_size: 440
    .language:       OpenCL C
    .language_version:
      - 2
      - 0
    .max_flat_workgroup_size: 128
    .name:           _Z20gated_delta_net_cudaILi64ELb0ELb1EEvPKfS1_S1_S1_S1_S1_Pfllllllllllll15HIP_vector_typeIjLj3EES4_fi
    .private_segment_fixed_size: 0
    .sgpr_count:     56
    .sgpr_spill_count: 0
    .symbol:         _Z20gated_delta_net_cudaILi64ELb0ELb1EEvPKfS1_S1_S1_S1_S1_Pfllllllllllll15HIP_vector_typeIjLj3EES4_fi.kd
    .uniform_work_group_size: 1
    .uses_dynamic_stack: false
    .vgpr_count:     27
    .vgpr_spill_count: 0
    .wavefront_size: 32
    .workgroup_processor_mode: 1
  - .args:
      - .address_space:  global
        .offset:         0
        .size:           8
        .value_kind:     global_buffer
      - .address_space:  global
        .offset:         8
        .size:           8
        .value_kind:     global_buffer
      - .address_space:  global
        .offset:         16
        .size:           8
        .value_kind:     global_buffer
      - .address_space:  global
        .offset:         24
        .size:           8
        .value_kind:     global_buffer
      - .address_space:  global
        .offset:         32
        .size:           8
        .value_kind:     global_buffer
      - .address_space:  global
        .offset:         40
        .size:           8
        .value_kind:     global_buffer
      - .address_space:  global
        .offset:         48
        .size:           8
        .value_kind:     global_buffer
      - .offset:         56
        .size:           8
        .value_kind:     by_value
      - .offset:         64
        .size:           8
        .value_kind:     by_value
      - .offset:         72
        .size:           8
        .value_kind:     by_value
      - .offset:         80
        .size:           8
        .value_kind:     by_value
      - .offset:         88
        .size:           8
        .value_kind:     by_value
      - .offset:         96
        .size:           8
        .value_kind:     by_value
      - .offset:         104
        .size:           8
        .value_kind:     by_value
      - .offset:         112
        .size:           8
        .value_kind:     by_value
      - .offset:         120
        .size:           8
        .value_kind:     by_value
      - .offset:         128
        .size:           8
        .value_kind:     by_value
      - .offset:         136
        .size:           8
        .value_kind:     by_value
      - .offset:         144
        .size:           8
        .value_kind:     by_value
      - .offset:         152
        .size:           12
        .value_kind:     by_value
      - .offset:         164
        .size:           12
        .value_kind:     by_value
      - .offset:         176
        .size:           4
        .value_kind:     by_value
      - .offset:         180
        .size:           4
        .value_kind:     by_value
      - .offset:         184
        .size:           4
        .value_kind:     hidden_block_count_x
      - .offset:         188
        .size:           4
        .value_kind:     hidden_block_count_y
      - .offset:         192
        .size:           4
        .value_kind:     hidden_block_count_z
      - .offset:         196
        .size:           2
        .value_kind:     hidden_group_size_x
      - .offset:         198
        .size:           2
        .value_kind:     hidden_group_size_y
      - .offset:         200
        .size:           2
        .value_kind:     hidden_group_size_z
      - .offset:         202
        .size:           2
        .value_kind:     hidden_remainder_x
      - .offset:         204
        .size:           2
        .value_kind:     hidden_remainder_y
      - .offset:         206
        .size:           2
        .value_kind:     hidden_remainder_z
      - .offset:         224
        .size:           8
        .value_kind:     hidden_global_offset_x
      - .offset:         232
        .size:           8
        .value_kind:     hidden_global_offset_y
      - .offset:         240
        .size:           8
        .value_kind:     hidden_global_offset_z
      - .offset:         248
        .size:           2
        .value_kind:     hidden_grid_dims
    .group_segment_fixed_size: 0
    .kernarg_segment_align: 8
    .kernarg_segment_size: 440
    .language:       OpenCL C
    .language_version:
      - 2
      - 0
    .max_flat_workgroup_size: 128
    .name:           _Z20gated_delta_net_cudaILi128ELb0ELb1EEvPKfS1_S1_S1_S1_S1_Pfllllllllllll15HIP_vector_typeIjLj3EES4_fi
    .private_segment_fixed_size: 0
    .sgpr_count:     57
    .sgpr_spill_count: 0
    .symbol:         _Z20gated_delta_net_cudaILi128ELb0ELb1EEvPKfS1_S1_S1_S1_S1_Pfllllllllllll15HIP_vector_typeIjLj3EES4_fi.kd
    .uniform_work_group_size: 1
    .uses_dynamic_stack: false
    .vgpr_count:     33
    .vgpr_spill_count: 0
    .wavefront_size: 32
    .workgroup_processor_mode: 1
  - .args:
      - .address_space:  global
        .offset:         0
        .size:           8
        .value_kind:     global_buffer
      - .address_space:  global
        .offset:         8
        .size:           8
        .value_kind:     global_buffer
      - .address_space:  global
        .offset:         16
        .size:           8
        .value_kind:     global_buffer
      - .address_space:  global
        .offset:         24
        .size:           8
        .value_kind:     global_buffer
      - .address_space:  global
        .offset:         32
        .size:           8
        .value_kind:     global_buffer
      - .address_space:  global
        .offset:         40
        .size:           8
        .value_kind:     global_buffer
      - .address_space:  global
        .offset:         48
        .size:           8
        .value_kind:     global_buffer
      - .offset:         56
        .size:           8
        .value_kind:     by_value
      - .offset:         64
        .size:           8
        .value_kind:     by_value
      - .offset:         72
        .size:           8
        .value_kind:     by_value
      - .offset:         80
        .size:           8
        .value_kind:     by_value
      - .offset:         88
        .size:           8
        .value_kind:     by_value
      - .offset:         96
        .size:           8
        .value_kind:     by_value
      - .offset:         104
        .size:           8
        .value_kind:     by_value
      - .offset:         112
        .size:           8
        .value_kind:     by_value
      - .offset:         120
        .size:           8
        .value_kind:     by_value
      - .offset:         128
        .size:           8
        .value_kind:     by_value
      - .offset:         136
        .size:           8
        .value_kind:     by_value
      - .offset:         144
        .size:           8
        .value_kind:     by_value
      - .offset:         152
        .size:           12
        .value_kind:     by_value
      - .offset:         164
        .size:           12
        .value_kind:     by_value
      - .offset:         176
        .size:           4
        .value_kind:     by_value
      - .offset:         180
        .size:           4
        .value_kind:     by_value
      - .offset:         184
        .size:           4
        .value_kind:     hidden_block_count_x
      - .offset:         188
        .size:           4
        .value_kind:     hidden_block_count_y
      - .offset:         192
        .size:           4
        .value_kind:     hidden_block_count_z
      - .offset:         196
        .size:           2
        .value_kind:     hidden_group_size_x
      - .offset:         198
        .size:           2
        .value_kind:     hidden_group_size_y
      - .offset:         200
        .size:           2
        .value_kind:     hidden_group_size_z
      - .offset:         202
        .size:           2
        .value_kind:     hidden_remainder_x
      - .offset:         204
        .size:           2
        .value_kind:     hidden_remainder_y
      - .offset:         206
        .size:           2
        .value_kind:     hidden_remainder_z
      - .offset:         224
        .size:           8
        .value_kind:     hidden_global_offset_x
      - .offset:         232
        .size:           8
        .value_kind:     hidden_global_offset_y
      - .offset:         240
        .size:           8
        .value_kind:     hidden_global_offset_z
      - .offset:         248
        .size:           2
        .value_kind:     hidden_grid_dims
    .group_segment_fixed_size: 0
    .kernarg_segment_align: 8
    .kernarg_segment_size: 440
    .language:       OpenCL C
    .language_version:
      - 2
      - 0
    .max_flat_workgroup_size: 64
    .name:           _Z20gated_delta_net_cudaILi16ELb0ELb0EEvPKfS1_S1_S1_S1_S1_Pfllllllllllll15HIP_vector_typeIjLj3EES4_fi
    .private_segment_fixed_size: 0
    .sgpr_count:     55
    .sgpr_spill_count: 0
    .symbol:         _Z20gated_delta_net_cudaILi16ELb0ELb0EEvPKfS1_S1_S1_S1_S1_Pfllllllllllll15HIP_vector_typeIjLj3EES4_fi.kd
    .uniform_work_group_size: 1
    .uses_dynamic_stack: false
    .vgpr_count:     24
    .vgpr_spill_count: 0
    .wavefront_size: 32
    .workgroup_processor_mode: 1
  - .args:
      - .address_space:  global
        .offset:         0
        .size:           8
        .value_kind:     global_buffer
      - .address_space:  global
        .offset:         8
        .size:           8
        .value_kind:     global_buffer
      - .address_space:  global
        .offset:         16
        .size:           8
        .value_kind:     global_buffer
      - .address_space:  global
        .offset:         24
        .size:           8
        .value_kind:     global_buffer
      - .address_space:  global
        .offset:         32
        .size:           8
        .value_kind:     global_buffer
      - .address_space:  global
        .offset:         40
        .size:           8
        .value_kind:     global_buffer
      - .address_space:  global
        .offset:         48
        .size:           8
        .value_kind:     global_buffer
      - .offset:         56
        .size:           8
        .value_kind:     by_value
      - .offset:         64
        .size:           8
        .value_kind:     by_value
      - .offset:         72
        .size:           8
        .value_kind:     by_value
      - .offset:         80
        .size:           8
        .value_kind:     by_value
      - .offset:         88
        .size:           8
        .value_kind:     by_value
      - .offset:         96
        .size:           8
        .value_kind:     by_value
      - .offset:         104
        .size:           8
        .value_kind:     by_value
      - .offset:         112
        .size:           8
        .value_kind:     by_value
      - .offset:         120
        .size:           8
        .value_kind:     by_value
      - .offset:         128
        .size:           8
        .value_kind:     by_value
      - .offset:         136
        .size:           8
        .value_kind:     by_value
      - .offset:         144
        .size:           8
        .value_kind:     by_value
      - .offset:         152
        .size:           12
        .value_kind:     by_value
      - .offset:         164
        .size:           12
        .value_kind:     by_value
      - .offset:         176
        .size:           4
        .value_kind:     by_value
      - .offset:         180
        .size:           4
        .value_kind:     by_value
      - .offset:         184
        .size:           4
        .value_kind:     hidden_block_count_x
      - .offset:         188
        .size:           4
        .value_kind:     hidden_block_count_y
      - .offset:         192
        .size:           4
        .value_kind:     hidden_block_count_z
      - .offset:         196
        .size:           2
        .value_kind:     hidden_group_size_x
      - .offset:         198
        .size:           2
        .value_kind:     hidden_group_size_y
      - .offset:         200
        .size:           2
        .value_kind:     hidden_group_size_z
      - .offset:         202
        .size:           2
        .value_kind:     hidden_remainder_x
      - .offset:         204
        .size:           2
        .value_kind:     hidden_remainder_y
      - .offset:         206
        .size:           2
        .value_kind:     hidden_remainder_z
      - .offset:         224
        .size:           8
        .value_kind:     hidden_global_offset_x
      - .offset:         232
        .size:           8
        .value_kind:     hidden_global_offset_y
      - .offset:         240
        .size:           8
        .value_kind:     hidden_global_offset_z
      - .offset:         248
        .size:           2
        .value_kind:     hidden_grid_dims
    .group_segment_fixed_size: 0
    .kernarg_segment_align: 8
    .kernarg_segment_size: 440
    .language:       OpenCL C
    .language_version:
      - 2
      - 0
    .max_flat_workgroup_size: 128
    .name:           _Z20gated_delta_net_cudaILi32ELb0ELb0EEvPKfS1_S1_S1_S1_S1_Pfllllllllllll15HIP_vector_typeIjLj3EES4_fi
    .private_segment_fixed_size: 0
    .sgpr_count:     55
    .sgpr_spill_count: 0
    .symbol:         _Z20gated_delta_net_cudaILi32ELb0ELb0EEvPKfS1_S1_S1_S1_S1_Pfllllllllllll15HIP_vector_typeIjLj3EES4_fi.kd
    .uniform_work_group_size: 1
    .uses_dynamic_stack: false
    .vgpr_count:     25
    .vgpr_spill_count: 0
    .wavefront_size: 32
    .workgroup_processor_mode: 1
  - .args:
      - .address_space:  global
        .offset:         0
        .size:           8
        .value_kind:     global_buffer
      - .address_space:  global
        .offset:         8
        .size:           8
        .value_kind:     global_buffer
      - .address_space:  global
        .offset:         16
        .size:           8
        .value_kind:     global_buffer
      - .address_space:  global
        .offset:         24
        .size:           8
        .value_kind:     global_buffer
      - .address_space:  global
        .offset:         32
        .size:           8
        .value_kind:     global_buffer
      - .address_space:  global
        .offset:         40
        .size:           8
        .value_kind:     global_buffer
      - .address_space:  global
        .offset:         48
        .size:           8
        .value_kind:     global_buffer
      - .offset:         56
        .size:           8
        .value_kind:     by_value
      - .offset:         64
        .size:           8
        .value_kind:     by_value
      - .offset:         72
        .size:           8
        .value_kind:     by_value
      - .offset:         80
        .size:           8
        .value_kind:     by_value
      - .offset:         88
        .size:           8
        .value_kind:     by_value
      - .offset:         96
        .size:           8
        .value_kind:     by_value
      - .offset:         104
        .size:           8
        .value_kind:     by_value
      - .offset:         112
        .size:           8
        .value_kind:     by_value
      - .offset:         120
        .size:           8
        .value_kind:     by_value
      - .offset:         128
        .size:           8
        .value_kind:     by_value
      - .offset:         136
        .size:           8
        .value_kind:     by_value
      - .offset:         144
        .size:           8
        .value_kind:     by_value
      - .offset:         152
        .size:           12
        .value_kind:     by_value
      - .offset:         164
        .size:           12
        .value_kind:     by_value
      - .offset:         176
        .size:           4
        .value_kind:     by_value
      - .offset:         180
        .size:           4
        .value_kind:     by_value
      - .offset:         184
        .size:           4
        .value_kind:     hidden_block_count_x
      - .offset:         188
        .size:           4
        .value_kind:     hidden_block_count_y
      - .offset:         192
        .size:           4
        .value_kind:     hidden_block_count_z
      - .offset:         196
        .size:           2
        .value_kind:     hidden_group_size_x
      - .offset:         198
        .size:           2
        .value_kind:     hidden_group_size_y
      - .offset:         200
        .size:           2
        .value_kind:     hidden_group_size_z
      - .offset:         202
        .size:           2
        .value_kind:     hidden_remainder_x
      - .offset:         204
        .size:           2
        .value_kind:     hidden_remainder_y
      - .offset:         206
        .size:           2
        .value_kind:     hidden_remainder_z
      - .offset:         224
        .size:           8
        .value_kind:     hidden_global_offset_x
      - .offset:         232
        .size:           8
        .value_kind:     hidden_global_offset_y
      - .offset:         240
        .size:           8
        .value_kind:     hidden_global_offset_z
      - .offset:         248
        .size:           2
        .value_kind:     hidden_grid_dims
    .group_segment_fixed_size: 0
    .kernarg_segment_align: 8
    .kernarg_segment_size: 440
    .language:       OpenCL C
    .language_version:
      - 2
      - 0
    .max_flat_workgroup_size: 128
    .name:           _Z20gated_delta_net_cudaILi64ELb0ELb0EEvPKfS1_S1_S1_S1_S1_Pfllllllllllll15HIP_vector_typeIjLj3EES4_fi
    .private_segment_fixed_size: 0
    .sgpr_count:     55
    .sgpr_spill_count: 0
    .symbol:         _Z20gated_delta_net_cudaILi64ELb0ELb0EEvPKfS1_S1_S1_S1_S1_Pfllllllllllll15HIP_vector_typeIjLj3EES4_fi.kd
    .uniform_work_group_size: 1
    .uses_dynamic_stack: false
    .vgpr_count:     27
    .vgpr_spill_count: 0
    .wavefront_size: 32
    .workgroup_processor_mode: 1
  - .args:
      - .address_space:  global
        .offset:         0
        .size:           8
        .value_kind:     global_buffer
      - .address_space:  global
        .offset:         8
        .size:           8
        .value_kind:     global_buffer
      - .address_space:  global
        .offset:         16
        .size:           8
        .value_kind:     global_buffer
      - .address_space:  global
        .offset:         24
        .size:           8
        .value_kind:     global_buffer
      - .address_space:  global
        .offset:         32
        .size:           8
        .value_kind:     global_buffer
      - .address_space:  global
        .offset:         40
        .size:           8
        .value_kind:     global_buffer
      - .address_space:  global
        .offset:         48
        .size:           8
        .value_kind:     global_buffer
      - .offset:         56
        .size:           8
        .value_kind:     by_value
      - .offset:         64
        .size:           8
        .value_kind:     by_value
      - .offset:         72
        .size:           8
        .value_kind:     by_value
      - .offset:         80
        .size:           8
        .value_kind:     by_value
      - .offset:         88
        .size:           8
        .value_kind:     by_value
      - .offset:         96
        .size:           8
        .value_kind:     by_value
      - .offset:         104
        .size:           8
        .value_kind:     by_value
      - .offset:         112
        .size:           8
        .value_kind:     by_value
      - .offset:         120
        .size:           8
        .value_kind:     by_value
      - .offset:         128
        .size:           8
        .value_kind:     by_value
      - .offset:         136
        .size:           8
        .value_kind:     by_value
      - .offset:         144
        .size:           8
        .value_kind:     by_value
      - .offset:         152
        .size:           12
        .value_kind:     by_value
      - .offset:         164
        .size:           12
        .value_kind:     by_value
      - .offset:         176
        .size:           4
        .value_kind:     by_value
      - .offset:         180
        .size:           4
        .value_kind:     by_value
      - .offset:         184
        .size:           4
        .value_kind:     hidden_block_count_x
      - .offset:         188
        .size:           4
        .value_kind:     hidden_block_count_y
      - .offset:         192
        .size:           4
        .value_kind:     hidden_block_count_z
      - .offset:         196
        .size:           2
        .value_kind:     hidden_group_size_x
      - .offset:         198
        .size:           2
        .value_kind:     hidden_group_size_y
      - .offset:         200
        .size:           2
        .value_kind:     hidden_group_size_z
      - .offset:         202
        .size:           2
        .value_kind:     hidden_remainder_x
      - .offset:         204
        .size:           2
        .value_kind:     hidden_remainder_y
      - .offset:         206
        .size:           2
        .value_kind:     hidden_remainder_z
      - .offset:         224
        .size:           8
        .value_kind:     hidden_global_offset_x
      - .offset:         232
        .size:           8
        .value_kind:     hidden_global_offset_y
      - .offset:         240
        .size:           8
        .value_kind:     hidden_global_offset_z
      - .offset:         248
        .size:           2
        .value_kind:     hidden_grid_dims
    .group_segment_fixed_size: 0
    .kernarg_segment_align: 8
    .kernarg_segment_size: 440
    .language:       OpenCL C
    .language_version:
      - 2
      - 0
    .max_flat_workgroup_size: 128
    .name:           _Z20gated_delta_net_cudaILi128ELb0ELb0EEvPKfS1_S1_S1_S1_S1_Pfllllllllllll15HIP_vector_typeIjLj3EES4_fi
    .private_segment_fixed_size: 0
    .sgpr_count:     54
    .sgpr_spill_count: 0
    .symbol:         _Z20gated_delta_net_cudaILi128ELb0ELb0EEvPKfS1_S1_S1_S1_S1_Pfllllllllllll15HIP_vector_typeIjLj3EES4_fi.kd
    .uniform_work_group_size: 1
    .uses_dynamic_stack: false
    .vgpr_count:     33
    .vgpr_spill_count: 0
    .wavefront_size: 32
    .workgroup_processor_mode: 1
amdhsa.target:   amdgcn-amd-amdhsa--gfx1030
amdhsa.version:
  - 1
  - 2
...

	.end_amdgpu_metadata
